;; amdgpu-corpus repo=ROCm/aiter kind=harvested arch=n/a opt=n/a

/root/src/amdgpu-assembly/repos/ROCm__aiter/hsa/gfx942/fmoe_2stages/fmoe_stage1_bf16_pertokenInt8_g1u1_32x192_pf3.co:	file format elf64-amdgpu

Disassembly of section .text:

0000000000002c00 <_ZN5aiter45fmoe_stage1_bf16_pertokenInt8_g1u1_32x192_pf3E>:
	s_and_b32 s1, s1, 0xffff                                   // 000000002C00: 8601FF01 0000FFFF
	s_load_dwordx2 s[8:9], s[0:1], 0x0                         // 000000002C08: C0060200 00000000
	s_load_dwordx2 s[20:21], s[0:1], 0x10                      // 000000002C10: C0060500 00000010
	s_load_dwordx2 s[24:25], s[0:1], 0x20                      // 000000002C18: C0060600 00000020
	s_load_dwordx2 s[48:49], s[0:1], 0x30                      // 000000002C20: C0060C00 00000030
	s_load_dwordx2 s[28:29], s[0:1], 0x40                      // 000000002C28: C0060700 00000040
	s_load_dwordx2 s[32:33], s[0:1], 0x50                      // 000000002C30: C0060800 00000050
	s_load_dwordx2 s[36:37], s[0:1], 0x60                      // 000000002C38: C0060900 00000060
	s_load_dwordx2 s[12:13], s[0:1], 0x70                      // 000000002C40: C0060300 00000070
	s_load_dwordx2 s[44:45], s[0:1], 0x80                      // 000000002C48: C0060B00 00000080
	s_mov_b32 s89, 0                                           // 000000002C50: BED90080
	s_load_dword s64, s[0:1], 0x90                             // 000000002C54: C0021000 00000090
	s_load_dword s65, s[0:1], 0xa0                             // 000000002C5C: C0021040 000000A0
	s_load_dword s66, s[0:1], 0xb0                             // 000000002C64: C0021080 000000B0
	s_load_dword s67, s[0:1], 0xc0                             // 000000002C6C: C00210C0 000000C0
	s_load_dword s68, s[0:1], 0xd0                             // 000000002C74: C0021100 000000D0
	s_load_dword s69, s[0:1], 0xe0                             // 000000002C7C: C0021140 000000E0
	s_load_dword s71, s[0:1], 0xf0                             // 000000002C84: C00211C0 000000F0
	s_load_dword s72, s[0:1], 0x100                            // 000000002C8C: C0021200 00000100
	s_load_dword s74, s[0:1], 0x110                            // 000000002C94: C0021280 00000110
	s_load_dword s76, s[0:1], 0x120                            // 000000002C9C: C0021300 00000120
	s_load_dword s56, s[0:1], 0x130                            // 000000002CA4: C0020E00 00000130
	s_load_dword s88, s[0:1], 0x140                            // 000000002CAC: C0021600 00000140
	s_load_dword s89, s[0:1], 0x150                            // 000000002CB4: C0021640 00000150
	v_lshrrev_b32_e32 v1, 10, v0                               // 000000002CBC: 2002008A
	v_lshrrev_b32_e32 v2, 10, v1                               // 000000002CC0: 2004028A
	v_and_b32_e32 v2, 0x3ff, v2                                // 000000002CC4: 260404FF 000003FF
	v_and_b32_e32 v1, 0x3ff, v1                                // 000000002CCC: 260202FF 000003FF
	v_and_b32_e32 v0, 0x3ff, v0                                // 000000002CD4: 260000FF 000003FF
	v_lshrrev_b32_e32 v3, 6, v0                                // 000000002CDC: 20060086
	v_and_b32_e32 v0, 63, v0                                   // 000000002CE0: 260000BF
	s_mov_b32 s2, s2                                           // 000000002CE4: BE820002
	s_mov_b32 s3, s3                                           // 000000002CE8: BE830003
	s_mov_b32 s4, s4                                           // 000000002CEC: BE840004
	v_readfirstlane_b32 s7, v3                                 // 000000002CF0: 7E0E0503
	s_waitcnt lgkmcnt(0)                                       // 000000002CF4: BF8CC07F
	s_and_b32 s49, s49, 0xffff                                 // 000000002CF8: 8631FF31 0000FFFF
	s_load_dword s48, s[48:49], 0x0                            // 000000002D00: C0020C18 00000000
	s_and_b32 s45, s45, 0xffff                                 // 000000002D08: 862DFF2D 0000FFFF
	s_and_b32 s9, s9, 0xffff                                   // 000000002D10: 8609FF09 0000FFFF
	s_mul_i32 s60, s66, s68                                    // 000000002D18: 923C4442
	s_mul_i32 s61, s66, 4                                      // 000000002D1C: 923D8442
	s_mov_b32 s22, s60                                         // 000000002D20: BE96003C
	s_mov_b32 s26, -16                                         // 000000002D24: BE9A00D0
	s_mov_b32 s30, s61                                         // 000000002D28: BE9E003D
	s_mov_b32 s14, 0x80                                        // 000000002D2C: BE8E00FF 00000080
	s_mov_b32 s38, -16                                         // 000000002D34: BEA600D0
	s_mov_b32 s10, -16                                         // 000000002D38: BE8A00D0
	s_mov_b32 s34, 0x300                                       // 000000002D3C: BEA200FF 00000300
	s_mov_b32 s23, 0x20000                                     // 000000002D44: BE9700FF 00020000
	s_mov_b32 s27, 0x20000                                     // 000000002D4C: BE9B00FF 00020000
	s_mov_b32 s31, 0x20000                                     // 000000002D54: BE9F00FF 00020000
	s_mov_b32 s35, 0x20000                                     // 000000002D5C: BEA300FF 00020000
	s_mov_b32 s15, 0x20000                                     // 000000002D64: BE8F00FF 00020000
	s_mov_b32 s39, 0x20000                                     // 000000002D6C: BEA700FF 00020000
	s_mov_b32 s11, 0x20000                                     // 000000002D74: BE8B00FF 00020000
	s_and_b32 s21, s21, 0xffff                                 // 000000002D7C: 8615FF15 0000FFFF
	s_and_b32 s25, s25, 0xffff                                 // 000000002D84: 8619FF19 0000FFFF
	s_and_b32 s29, s29, 0xffff                                 // 000000002D8C: 861DFF1D 0000FFFF
	s_and_b32 s33, s33, 0xffff                                 // 000000002D94: 8621FF21 0000FFFF
	s_and_b32 s13, s13, 0xffff                                 // 000000002D9C: 860DFF0D 0000FFFF
	s_and_b32 s37, s37, 0xffff                                 // 000000002DA4: 8625FF25 0000FFFF
	s_or_b32 s21, s21, 0x40000                                 // 000000002DAC: 8715FF15 00040000
	s_or_b32 s25, s25, 0x40000                                 // 000000002DB4: 8719FF19 00040000
	s_or_b32 s29, s29, 0x40000                                 // 000000002DBC: 871DFF1D 00040000
	s_or_b32 s33, s33, 0x40000                                 // 000000002DC4: 8721FF21 00040000
	s_or_b32 s13, s13, 0x40000                                 // 000000002DCC: 870DFF0D 00040000
	s_or_b32 s37, s37, 0x40000                                 // 000000002DD4: 8725FF25 00040000
	v_accvgpr_write_b32 a103, 0                                // 000000002DDC: D3D94067 18000080
	v_mov_b32_e32 v95, 0                                       // 000000002DE4: 7EBE0280
	s_waitcnt lgkmcnt(0)                                       // 000000002DE8: BF8CC07F
	s_mul_i32 s60, s3, 32                                      // 000000002DEC: 923CA003
	s_cmp_lt_i32 s60, s48                                      // 000000002DF0: BF04303C
	s_cbranch_scc0 label_16CD                                  // 000000002DF4: BF84164C
	s_mov_b32 s80, 0                                           // 000000002DF8: BED00080
	s_lshr_b32 s81, s64, s88                                   // 000000002DFC: 8F515840
	s_mul_i32 s60, s3, 4                                       // 000000002E00: 923C8403
	s_add_u32 s44, s60, s44                                    // 000000002E04: 802C2C3C
	s_addc_u32 s45, 0, s45                                     // 000000002E08: 822D2D80
	s_load_dword s5, s[44:45], 0x0                             // 000000002E0C: C0020156 00000000
	s_mul_i32 s60, s3, 32                                      // 000000002E14: 923CA003
	s_mul_i32 s60, 4, s60                                      // 000000002E18: 923C3C84
	s_add_u32 s12, s60, s12                                    // 000000002E1C: 800C0C3C
	s_addc_u32 s13, 0, s13                                     // 000000002E20: 820D0D80
	v_and_b32_e32 v4, 15, v0                                   // 000000002E24: 2608008F
	v_lshlrev_b32_e32 v4, 2, v4                                // 000000002E28: 24080882
	buffer_load_dword v30, v4, s[12:15], 0 offen               // 000000002E2C: E0501000 80031E04
	v_add_u32_e32 v4, 64, v4                                   // 000000002E34: 680808C0
	buffer_load_dword v31, v4, s[12:15], 0 offen               // 000000002E38: E0501000 80031F04
	v_add_u32_e32 v4, 64, v4                                   // 000000002E40: 680808C0
	s_mul_i32 s60, 4, s7                                       // 000000002E44: 923C0784
	v_lshlrev_b32_e32 v4, 4, v0                                // 000000002E48: 24080084
	v_add_u32_e32 v4, s60, v4                                  // 000000002E4C: 6808083C
	buffer_load_dword v3, v4, s[12:15], 0 offen                // 000000002E50: E0501000 80030304
	v_mov_b32_e32 v48, 0                                       // 000000002E58: 7E600280
	v_mov_b32_e32 v72, 0                                       // 000000002E5C: 7E900280
	v_mov_b32_e32 v49, 0                                       // 000000002E60: 7E620280
	v_mov_b32_e32 v73, 0                                       // 000000002E64: 7E920280
	v_mov_b32_e32 v50, 0                                       // 000000002E68: 7E640280
	v_mov_b32_e32 v74, 0                                       // 000000002E6C: 7E940280
	v_mov_b32_e32 v51, 0                                       // 000000002E70: 7E660280
	v_mov_b32_e32 v75, 0                                       // 000000002E74: 7E960280
	v_mov_b32_e32 v52, 0                                       // 000000002E78: 7E680280
	v_mov_b32_e32 v76, 0                                       // 000000002E7C: 7E980280
	v_mov_b32_e32 v53, 0                                       // 000000002E80: 7E6A0280
	v_mov_b32_e32 v77, 0                                       // 000000002E84: 7E9A0280
	v_mov_b32_e32 v54, 0                                       // 000000002E88: 7E6C0280
	v_mov_b32_e32 v78, 0                                       // 000000002E8C: 7E9C0280
	v_mov_b32_e32 v55, 0                                       // 000000002E90: 7E6E0280
	v_mov_b32_e32 v79, 0                                       // 000000002E94: 7E9E0280
	v_mov_b32_e32 v56, 0                                       // 000000002E98: 7E700280
	v_mov_b32_e32 v80, 0                                       // 000000002E9C: 7EA00280
	v_mov_b32_e32 v57, 0                                       // 000000002EA0: 7E720280
	v_mov_b32_e32 v81, 0                                       // 000000002EA4: 7EA20280
	v_mov_b32_e32 v58, 0                                       // 000000002EA8: 7E740280
	v_mov_b32_e32 v82, 0                                       // 000000002EAC: 7EA40280
	v_mov_b32_e32 v59, 0                                       // 000000002EB0: 7E760280
	v_mov_b32_e32 v83, 0                                       // 000000002EB4: 7EA60280
	v_mov_b32_e32 v60, 0                                       // 000000002EB8: 7E780280
	v_mov_b32_e32 v84, 0                                       // 000000002EBC: 7EA80280
	v_mov_b32_e32 v61, 0                                       // 000000002EC0: 7E7A0280
	v_mov_b32_e32 v85, 0                                       // 000000002EC4: 7EAA0280
	v_mov_b32_e32 v62, 0                                       // 000000002EC8: 7E7C0280
	v_mov_b32_e32 v86, 0                                       // 000000002ECC: 7EAC0280
	v_mov_b32_e32 v63, 0                                       // 000000002ED0: 7E7E0280
	v_mov_b32_e32 v87, 0                                       // 000000002ED4: 7EAE0280
	v_mov_b32_e32 v64, 0                                       // 000000002ED8: 7E800280
	v_mov_b32_e32 v88, 0                                       // 000000002EDC: 7EB00280
	v_mov_b32_e32 v65, 0                                       // 000000002EE0: 7E820280
	v_mov_b32_e32 v89, 0                                       // 000000002EE4: 7EB20280
	v_mov_b32_e32 v66, 0                                       // 000000002EE8: 7E840280
	v_mov_b32_e32 v90, 0                                       // 000000002EEC: 7EB40280
	v_mov_b32_e32 v67, 0                                       // 000000002EF0: 7E860280
	v_mov_b32_e32 v91, 0                                       // 000000002EF4: 7EB60280
	v_mov_b32_e32 v68, 0                                       // 000000002EF8: 7E880280
	v_mov_b32_e32 v92, 0                                       // 000000002EFC: 7EB80280
	v_mov_b32_e32 v69, 0                                       // 000000002F00: 7E8A0280
	v_mov_b32_e32 v93, 0                                       // 000000002F04: 7EBA0280
	v_mov_b32_e32 v70, 0                                       // 000000002F08: 7E8C0280
	v_mov_b32_e32 v94, 0                                       // 000000002F0C: 7EBC0280
	v_mov_b32_e32 v71, 0                                       // 000000002F10: 7E8E0280
	v_mov_b32_e32 v95, 0                                       // 000000002F14: 7EBE0280
	s_mul_i32 s60, s2, 0x180                                   // 000000002F18: 923CFF02 00000180
	s_cmp_eq_u32 s88, 0                                        // 000000002F20: BF068058
	s_cselect_b32 s61, 1, 2                                    // 000000002F24: 853D8281
	s_mul_i32 s60, s60, s61                                    // 000000002F28: 923C3D3C
	s_mov_b32 s90, s8                                          // 000000002F2C: BEDA0008
	s_mov_b32 s91, s9                                          // 000000002F30: BEDB0009
	s_add_u32 s8, s60, s8                                      // 000000002F34: 8008083C
	s_addc_u32 s9, 0, s9                                       // 000000002F38: 82090980
	v_lshrrev_b32_e32 v4, 4, v0                                // 000000002F3C: 20080084
	v_mul_lo_u32 v20, 34, v4                                   // 000000002F40: D2850014 000208A2
	v_and_b32_e32 v4, 15, v0                                   // 000000002F48: 2608008F
	v_mul_lo_u32 v5, 2, v4                                     // 000000002F4C: D2850005 00020882
	v_add_u32_e32 v20, v5, v20                                 // 000000002F54: 68282905
	s_mul_i32 s60, s7, 0x88                                    // 000000002F58: 923CFF07 00000088
	v_add_u32_e32 v20, s60, v20                                // 000000002F60: 6828283C
	v_lshlrev_b32_e32 v20, 2, v20                              // 000000002F64: 24282882
	v_and_b32_e32 v4, 31, v0                                   // 000000002F68: 2608009F
	v_lshrrev_b32_e32 v4, 1, v4                                // 000000002F6C: 20080881
	v_mul_lo_u32 v21, 34, v4                                   // 000000002F70: D2850015 000208A2
	v_lshrrev_b32_e32 v4, 5, v0                                // 000000002F78: 20080085
	v_mul_lo_u32 v4, 8, v4                                     // 000000002F7C: D2850004 00020888
	v_add_u32_e32 v21, v21, v4                                 // 000000002F84: 682A0915
	v_and_b32_e32 v5, 1, v0                                    // 000000002F88: 260A0081
	v_add_u32_e32 v21, v5, v21                                 // 000000002F8C: 682A2B05
	s_mul_i32 s60, s7, 2                                       // 000000002F90: 923C8207
	v_add_u32_e32 v21, s60, v21                                // 000000002F94: 682A2A3C
	v_lshlrev_b32_e32 v21, 2, v21                              // 000000002F98: 242A2A82
	s_mul_i32 s60, s7, 0x420                                   // 000000002F9C: 923CFF07 00000420
	s_add_u32 s48, 0, s60                                      // 000000002FA4: 80303C80
	s_add_u32 s49, 0x1080, s48                                 // 000000002FA8: 803130FF 00001080
	s_add_u32 s50, 0x1080, s49                                 // 000000002FB0: 803231FF 00001080
	v_lshrrev_b32_e32 v4, 4, v0                                // 000000002FB8: 20080084
	v_lshlrev_b32_e32 v5, 2, v4                                // 000000002FBC: 240A0882
	v_and_b32_e32 v4, 15, v0                                   // 000000002FC0: 2608008F
	v_lshrrev_b32_e32 v6, 2, v4                                // 000000002FC4: 200C0882
	v_lshlrev_b32_e32 v6, 5, v6                                // 000000002FC8: 240C0C85
	v_add_u32_e32 v5, v6, v5                                   // 000000002FCC: 680A0B06
	v_and_b32_e32 v4, 3, v0                                    // 000000002FD0: 26080083
	v_mul_u32_u24_e32 v6, 0x108, v4                            // 000000002FD4: 100C08FF 00000108
	v_add_u32_e32 v5, v6, v5                                   // 000000002FDC: 680A0B06
	v_lshlrev_b32_e32 v2, 2, v5                                // 000000002FE0: 24040A82
	s_waitcnt lgkmcnt(0)                                       // 000000002FE4: BF8CC07F
	s_mul_i32 s60, s2, 0xc0                                    // 000000002FE8: 923CFF02 000000C0
	s_mul_i32 s60, s60, s69                                    // 000000002FF0: 923C453C
	s_mul_i32 s61, s5, s72                                     // 000000002FF4: 923D4805
	s_add_u32 s60, s61, s60                                    // 000000002FF8: 803C3C3D
	s_add_u32 s24, s60, s24                                    // 000000002FFC: 8018183C
	s_addc_u32 s25, 0, s25                                     // 000000003000: 82191980
	s_lshr_b32 s60, s64, s88                                   // 000000003004: 8F3C5840
	s_mul_i32 s60, s4, s60                                     // 000000003008: 923C3C04
	s_lshr_b32 s60, s60, 7                                     // 00000000300C: 8F3C873C
	s_mul_i32 s60, s60, 0x800                                  // 000000003010: 923CFF3C 00000800
	s_add_u32 s24, s60, s24                                    // 000000003018: 8018183C
	s_addc_u32 s25, 0, s25                                     // 00000000301C: 82191980
	s_lshr_b32 s60, s69, s88                                   // 000000003020: 8F3C5845
	s_mul_i32 s60, s4, s60                                     // 000000003024: 923C3C04
	s_add_u32 s20, s60, s20                                    // 000000003028: 8014143C
	s_addc_u32 s21, 0, s21                                     // 00000000302C: 82151580
	s_mul_i32 s60, s7, 16                                      // 000000003030: 923C9007
	s_mul_i32 s60, s60, s69                                    // 000000003034: 923C453C
	v_lshlrev_b32_e32 v42, 4, v0                               // 000000003038: 24540084
	v_add_u32_e32 v42, s60, v42                                // 00000000303C: 6854543C
	s_mul_i32 s60, 64, s69                                     // 000000003040: 923C45C0
	v_add_u32_e32 v43, s60, v42                                // 000000003044: 6856543C
	v_add_u32_e32 v44, s60, v43                                // 000000003048: 6858563C
	s_mov_b32 s84, s24                                         // 00000000304C: BED40018
	s_mov_b32 s85, s25                                         // 000000003050: BED50019
	s_mov_b32 s86, s26                                         // 000000003054: BED6001A
	s_mov_b32 s87, s27                                         // 000000003058: BED7001B
	s_mul_i32 s60, s69, s65                                    // 00000000305C: 923C4145
	s_add_u32 s84, s60, s84                                    // 000000003060: 8054543C
	s_addc_u32 s85, 0, s85                                     // 000000003064: 82555580
	v_lshrrev_b32_e32 v4, 4, v0                                // 000000003068: 20080084
	v_lshlrev_b32_e32 v5, 2, v4                                // 00000000306C: 240A0882
	v_and_b32_e32 v4, 15, v0                                   // 000000003070: 2608008F
	v_lshrrev_b32_e32 v6, 2, v4                                // 000000003074: 200C0882
	v_lshlrev_b32_e32 v6, 6, v6                                // 000000003078: 240C0C86
	v_add_u32_e32 v5, v6, v5                                   // 00000000307C: 680A0B06
	v_and_b32_e32 v4, 3, v0                                    // 000000003080: 26080083
	v_add_u32_e32 v5, v4, v5                                   // 000000003084: 680A0B04
	v_lshlrev_b32_e32 v22, 2, v5                               // 000000003088: 242C0A82
	s_mul_i32 s60, s7, 16                                      // 00000000308C: 923C9007
	s_mul_i32 s60, s60, 4                                      // 000000003090: 923C843C
	v_add_u32_e32 v22, s60, v22                                // 000000003094: 682C2C3C
	s_mul_i32 s60, s2, 0xc0                                    // 000000003098: 923CFF02 000000C0
	s_mul_i32 s60, s60, 4                                      // 0000000030A0: 923C843C
	s_mul_i32 s61, s5, s74                                     // 0000000030A4: 923D4A05
	s_add_u32 s61, s61, s60                                    // 0000000030A8: 803D3C3D
	s_add_u32 s32, s61, s32                                    // 0000000030AC: 8020203D
	s_addc_u32 s33, 0, s33                                     // 0000000030B0: 82212180
	s_mov_b32 s57, 0x80                                        // 0000000030B4: BEB900FF 00000080
	s_mov_b32 s58, 0x800                                       // 0000000030BC: BEBA00FF 00000800
	s_mov_b32 s83, s58                                         // 0000000030C4: BED3003A
	s_mov_b32 s52, 0x7060302                                   // 0000000030C8: BEB400FF 07060302
	s_mov_b32 s53, 0x400                                       // 0000000030D0: BEB500FF 00000400
	s_mov_b32 s54, 0x40100                                     // 0000000030D8: BEB600FF 00040100
	s_mov_b32 s55, 0x4020100                                   // 0000000030E0: BEB700FF 04020100
	s_mov_b32 s6, 0x3fb8aa3b                                   // 0000000030E8: BE8600FF 3FB8AA3B
	s_mov_b32 s78, 0xbd92220c                                  // 0000000030F0: BECE00FF BD92220C
	s_mov_b32 s79, 0xbd92220c                                  // 0000000030F8: BECF00FF BD92220C
	s_mov_b32 m0, s48                                          // 000000003100: BEFC0030
	v_mov_b32_e32 v1, 0xbfcc4231                               // 000000003104: 7E0202FF BFCC4231
	v_mov_b32_e32 v17, 0xffff0000                              // 00000000310C: 7E2202FF FFFF0000
	v_mov_b32_e32 v18, 0x7fff0000                              // 000000003114: 7E2402FF 7FFF0000
	v_mov_b32_e32 v19, 0x7fff                                  // 00000000311C: 7E2602FF 00007FFF
	s_waitcnt vmcnt(0) expcnt(0) lgkmcnt(0)                    // 000000003124: BF8C0000
	v_lshrrev_b32_e32 v4, 5, v0                                // 000000003128: 20080085
	v_xor_b32_e32 v5, 1, v4                                    // 00000000312C: 2A0A0881
	v_readlane_b32 s82, v3, 0                                  // 000000003130: D2890052 00010103
	s_and_b32 s82, s82, 0xffffff                               // 000000003138: 8652FF52 00FFFFFF
	v_mul_lo_u32 v6, v5, s82                                   // 000000003140: D2850006 0000A505
	v_readlane_b32 s82, v3, 1                                  // 000000003148: D2890052 00010303
	s_and_b32 s82, s82, 0xffffff                               // 000000003150: 8652FF52 00FFFFFF
	v_mul_lo_u32 v7, v4, s82                                   // 000000003158: D2850007 0000A504
	v_add_u32_e32 v38, v6, v7                                  // 000000003160: 684C0F06
	v_mul_lo_u32 v38, v38, s68                                 // 000000003164: D2850026 00008926
	v_readlane_b32 s82, v3, 2                                  // 00000000316C: D2890052 00010503
	s_and_b32 s82, s82, 0xffffff                               // 000000003174: 8652FF52 00FFFFFF
	v_mul_lo_u32 v6, v5, s82                                   // 00000000317C: D2850006 0000A505
	v_readlane_b32 s82, v3, 3                                  // 000000003184: D2890052 00010703
	s_and_b32 s82, s82, 0xffffff                               // 00000000318C: 8652FF52 00FFFFFF
	v_mul_lo_u32 v7, v4, s82                                   // 000000003194: D2850007 0000A504
	v_add_u32_e32 v39, v6, v7                                  // 00000000319C: 684E0F06
	v_mul_lo_u32 v39, v39, s68                                 // 0000000031A0: D2850027 00008927
	v_readlane_b32 s82, v3, 4                                  // 0000000031A8: D2890052 00010903
	s_and_b32 s82, s82, 0xffffff                               // 0000000031B0: 8652FF52 00FFFFFF
	v_mul_lo_u32 v6, v5, s82                                   // 0000000031B8: D2850006 0000A505
	v_readlane_b32 s82, v3, 5                                  // 0000000031C0: D2890052 00010B03
	s_and_b32 s82, s82, 0xffffff                               // 0000000031C8: 8652FF52 00FFFFFF
	v_mul_lo_u32 v7, v4, s82                                   // 0000000031D0: D2850007 0000A504
	v_add_u32_e32 v40, v6, v7                                  // 0000000031D8: 68500F06
	v_mul_lo_u32 v40, v40, s68                                 // 0000000031DC: D2850028 00008928
	v_readlane_b32 s82, v3, 6                                  // 0000000031E4: D2890052 00010D03
	s_and_b32 s82, s82, 0xffffff                               // 0000000031EC: 8652FF52 00FFFFFF
	v_mul_lo_u32 v6, v5, s82                                   // 0000000031F4: D2850006 0000A505
	v_readlane_b32 s82, v3, 7                                  // 0000000031FC: D2890052 00010F03
	s_and_b32 s82, s82, 0xffffff                               // 000000003204: 8652FF52 00FFFFFF
	v_mul_lo_u32 v7, v4, s82                                   // 00000000320C: D2850007 0000A504
	v_add_u32_e32 v41, v6, v7                                  // 000000003214: 68520F06
	v_mul_lo_u32 v41, v41, s68                                 // 000000003218: D2850029 00008929
	v_and_b32_e32 v4, 31, v0                                   // 000000003220: 2608009F
	v_lshlrev_b32_e32 v4, 2, v4                                // 000000003224: 24080882
	v_add_u32_e32 v38, v38, v4                                 // 000000003228: 684C0926
	v_add_u32_e32 v39, v39, v4                                 // 00000000322C: 684E0927
	v_add_u32_e32 v40, v40, v4                                 // 000000003230: 68500928
	v_add_u32_e32 v41, v41, v4                                 // 000000003234: 68520929
	v_and_b32_e32 v30, 0xffffff, v30                           // 000000003238: 263C3CFF 00FFFFFF
	v_lshlrev_b32_e32 v30, 2, v30                              // 000000003240: 243C3C82
	v_and_b32_e32 v31, 0xffffff, v31                           // 000000003244: 263E3EFF 00FFFFFF
	v_lshlrev_b32_e32 v31, 2, v31                              // 00000000324C: 243E3E82
	s_lshl_b32 s3, s66, 2                                      // 000000003250: 8E038242
	buffer_load_dword v32, v30, s[28:31], 0 offen              // 000000003254: E0501000 8007201E
	buffer_load_dword v33, v31, s[28:31], 0 offen              // 00000000325C: E0501000 8007211F
	buffer_load_dword v24, v22, s[32:35], 0 offen              // 000000003264: E0501000 80081816
	s_mul_i32 s60, 4, s65                                      // 00000000326C: 923C4184
	s_add_u32 s32, s60, s32                                    // 000000003270: 8020203C
	s_addc_u32 s33, 0, s33                                     // 000000003274: 82212180
	buffer_load_dword v27, v22, s[32:35], 0 offen              // 000000003278: E0501000 80081B16
	buffer_load_dword v38, s[20:23], 0 offen lds               // 000000003280: E0511000 80050026
	s_add_u32 m0, 0x100, s48                                   // 000000003288: 807C30FF 00000100
	buffer_load_dword v39, s[20:23], 0 offen lds               // 000000003290: E0511000 80050027
	s_add_u32 m0, 0x200, s48                                   // 000000003298: 807C30FF 00000200
	buffer_load_dword v40, s[20:23], 0 offen lds               // 0000000032A0: E0511000 80050028
	s_add_u32 m0, 0x300, s48                                   // 0000000032A8: 807C30FF 00000300
	buffer_load_dword v41, s[20:23], 0 offen lds               // 0000000032B0: E0511000 80050029
	s_add_u32 m0, 0, s49                                       // 0000000032B8: 807C3180
	s_add_u32 s20, s57, s20                                    // 0000000032BC: 80141439
	s_addc_u32 s21, 0, s21                                     // 0000000032C0: 82151580
	buffer_load_dwordx4 a[32:35], v42, s[24:27], 0 offen       // 0000000032C4: E05C1000 8086202A
	buffer_load_dwordx4 a[36:39], v42, s[24:27], 0 offen offset:1024// 0000000032CC: E05C1400 8086242A
	buffer_load_dwordx4 a[40:43], v43, s[24:27], 0 offen       // 0000000032D4: E05C1000 8086282B
	buffer_load_dwordx4 a[44:47], v43, s[24:27], 0 offen offset:1024// 0000000032DC: E05C1400 80862C2B
	buffer_load_dwordx4 a[48:51], v44, s[24:27], 0 offen       // 0000000032E4: E05C1000 8086302C
	buffer_load_dwordx4 a[52:55], v44, s[24:27], 0 offen offset:1024// 0000000032EC: E05C1400 8086342C
	s_add_u32 s24, s58, s24                                    // 0000000032F4: 8018183A
	s_addc_u32 s25, 0, s25                                     // 0000000032F8: 82191980
	buffer_load_dword v38, s[20:23], 0 offen lds               // 0000000032FC: E0511000 80050026
	s_add_u32 m0, 0x100, s49                                   // 000000003304: 807C31FF 00000100
	buffer_load_dword v39, s[20:23], 0 offen lds               // 00000000330C: E0511000 80050027
	s_add_u32 m0, 0x200, s49                                   // 000000003314: 807C31FF 00000200
	buffer_load_dword v40, s[20:23], 0 offen lds               // 00000000331C: E0511000 80050028
	s_add_u32 m0, 0x300, s49                                   // 000000003324: 807C31FF 00000300
	buffer_load_dword v41, s[20:23], 0 offen lds               // 00000000332C: E0511000 80050029
	s_add_u32 m0, 0, s50                                       // 000000003334: 807C3280
	s_add_u32 s20, s57, s20                                    // 000000003338: 80141439
	s_addc_u32 s21, 0, s21                                     // 00000000333C: 82151580
	buffer_load_dwordx4 a[56:59], v42, s[84:87], 0 offen       // 000000003340: E05C1000 8095382A
	buffer_load_dwordx4 a[60:63], v42, s[84:87], 0 offen offset:1024// 000000003348: E05C1400 80953C2A
	buffer_load_dwordx4 a[64:67], v43, s[84:87], 0 offen       // 000000003350: E05C1000 8095402B
	buffer_load_dwordx4 a[68:71], v43, s[84:87], 0 offen offset:1024// 000000003358: E05C1400 8095442B
	buffer_load_dwordx4 a[72:75], v44, s[84:87], 0 offen       // 000000003360: E05C1000 8095482C
	buffer_load_dwordx4 a[76:79], v44, s[84:87], 0 offen offset:1024// 000000003368: E05C1400 80954C2C
	s_add_u32 s84, s83, s84                                    // 000000003370: 80545453
	s_addc_u32 s85, 0, s85                                     // 000000003374: 82555580
	s_waitcnt vmcnt(16)                                        // 000000003378: BF8C4F70
	s_barrier                                                  // 00000000337C: BF8A0000
	ds_read_b128 a[0:3], v2                                    // 000000003380: DBFE0000 00000002
	ds_read_b128 a[4:7], v2 offset:64                          // 000000003388: DBFE0040 04000002
	ds_read_b128 a[8:11], v2 offset:512                        // 000000003390: DBFE0200 08000002
	ds_read_b128 a[12:15], v2 offset:576                       // 000000003398: DBFE0240 0C000002
	s_cmp_lt_i32 s7, 2                                         // 0000000033A0: BF048207
	s_cbranch_scc0 label_0C5D                                  // 0000000033A4: BF840A70

00000000000033a8 <label_01EA>:
	s_waitcnt vmcnt(10) lgkmcnt(0)                             // 0000000033A8: BF8C007A
	v_mfma_i32_16x16x32_i8 v[48:51], a[32:33], a[0:1], v[48:51]// 0000000033AC: D3D70030 1CC20120
	v_mfma_i32_16x16x32_i8 v[48:51], a[34:35], a[2:3], v[48:51]// 0000000033B4: D3D70030 1CC20522
	buffer_load_dwordx4 a[80:83], v42, s[24:27], 0 offen       // 0000000033BC: E05C1000 8086502A
	v_mfma_i32_16x16x32_i8 v[48:51], a[36:37], a[4:5], v[48:51]// 0000000033C4: D3D70030 1CC20924
	v_mfma_i32_16x16x32_i8 v[48:51], a[38:39], a[6:7], v[48:51]// 0000000033CC: D3D70030 1CC20D26
	v_mfma_i32_16x16x32_i8 v[56:59], a[40:41], a[0:1], v[56:59]// 0000000033D4: D3D70038 1CE20128
	v_mfma_i32_16x16x32_i8 v[56:59], a[42:43], a[2:3], v[56:59]// 0000000033DC: D3D70038 1CE2052A
	buffer_load_dwordx4 a[84:87], v42, s[24:27], 0 offen offset:1024// 0000000033E4: E05C1400 8086542A
	v_mfma_i32_16x16x32_i8 v[56:59], a[44:45], a[4:5], v[56:59]// 0000000033EC: D3D70038 1CE2092C
	v_mfma_i32_16x16x32_i8 v[56:59], a[46:47], a[6:7], v[56:59]// 0000000033F4: D3D70038 1CE20D2E
	v_mfma_i32_16x16x32_i8 v[64:67], a[48:49], a[0:1], v[64:67]// 0000000033FC: D3D70040 1D020130
	v_mfma_i32_16x16x32_i8 v[64:67], a[50:51], a[2:3], v[64:67]// 000000003404: D3D70040 1D020532
	buffer_load_dwordx4 a[88:91], v43, s[24:27], 0 offen       // 00000000340C: E05C1000 8086582B
	v_mfma_i32_16x16x32_i8 v[64:67], a[52:53], a[4:5], v[64:67]// 000000003414: D3D70040 1D020934
	v_mfma_i32_16x16x32_i8 v[64:67], a[54:55], a[6:7], v[64:67]// 00000000341C: D3D70040 1D020D36
	v_mfma_i32_16x16x32_i8 v[52:55], a[32:33], a[8:9], v[52:55]// 000000003424: D3D70034 1CD21120
	v_mfma_i32_16x16x32_i8 v[52:55], a[34:35], a[10:11], v[52:55]// 00000000342C: D3D70034 1CD21522
	buffer_load_dwordx4 a[92:95], v43, s[24:27], 0 offen offset:1024// 000000003434: E05C1400 80865C2B
	v_mfma_i32_16x16x32_i8 v[52:55], a[36:37], a[12:13], v[52:55]// 00000000343C: D3D70034 1CD21924
	v_mfma_i32_16x16x32_i8 v[52:55], a[38:39], a[14:15], v[52:55]// 000000003444: D3D70034 1CD21D26
	v_mfma_i32_16x16x32_i8 v[60:63], a[40:41], a[8:9], v[60:63]// 00000000344C: D3D7003C 1CF21128
	v_mfma_i32_16x16x32_i8 v[60:63], a[42:43], a[10:11], v[60:63]// 000000003454: D3D7003C 1CF2152A
	buffer_load_dwordx4 a[96:99], v44, s[24:27], 0 offen       // 00000000345C: E05C1000 8086602C
	v_mfma_i32_16x16x32_i8 v[60:63], a[44:45], a[12:13], v[60:63]// 000000003464: D3D7003C 1CF2192C
	v_mfma_i32_16x16x32_i8 v[60:63], a[46:47], a[14:15], v[60:63]// 00000000346C: D3D7003C 1CF21D2E
	v_mfma_i32_16x16x32_i8 v[68:71], a[48:49], a[8:9], v[68:71]// 000000003474: D3D70044 1D121130
	v_mfma_i32_16x16x32_i8 v[68:71], a[50:51], a[10:11], v[68:71]// 00000000347C: D3D70044 1D121532
	buffer_load_dwordx4 a[100:103], v44, s[24:27], 0 offen offset:1024// 000000003484: E05C1400 8086642C
	buffer_load_dword v38, s[20:23], 0 offen lds               // 00000000348C: E0511000 80050026
	s_add_u32 m0, 0x100, s50                                   // 000000003494: 807C32FF 00000100
	v_mfma_i32_16x16x32_i8 v[68:71], a[52:53], a[12:13], v[68:71]// 00000000349C: D3D70044 1D121934
	v_mfma_i32_16x16x32_i8 v[68:71], a[54:55], a[14:15], v[68:71]// 0000000034A4: D3D70044 1D121D36
	buffer_load_dword v39, s[20:23], 0 offen lds               // 0000000034AC: E0511000 80050027
	s_add_u32 m0, 0x200, s50                                   // 0000000034B4: 807C32FF 00000200
	buffer_load_dword v40, s[20:23], 0 offen lds               // 0000000034BC: E0511000 80050028
	s_add_u32 m0, 0x300, s50                                   // 0000000034C4: 807C32FF 00000300
	buffer_load_dword v41, s[20:23], 0 offen lds               // 0000000034CC: E0511000 80050029
	s_add_u32 m0, 0, s48                                       // 0000000034D4: 807C3080
	s_waitcnt vmcnt(10)                                        // 0000000034D8: BF8C0F7A
	s_barrier                                                  // 0000000034DC: BF8A0000
	v_mfma_i32_16x16x32_i8 v[72:75], a[56:57], a[0:1], v[72:75]// 0000000034E0: D3D70048 1D220138
	v_mfma_i32_16x16x32_i8 v[72:75], a[58:59], a[2:3], v[72:75]// 0000000034E8: D3D70048 1D22053A
	buffer_load_dwordx4 a[32:35], v42, s[84:87], 0 offen       // 0000000034F0: E05C1000 8095202A
	v_mfma_i32_16x16x32_i8 v[72:75], a[60:61], a[4:5], v[72:75]// 0000000034F8: D3D70048 1D22093C
	v_mfma_i32_16x16x32_i8 v[72:75], a[62:63], a[6:7], v[72:75]// 000000003500: D3D70048 1D220D3E
	ds_read_b128 a[16:19], v2 offset:4224                      // 000000003508: DBFE1080 10000002
	ds_read_b128 a[20:23], v2 offset:4288                      // 000000003510: DBFE10C0 14000002
	v_mfma_i32_16x16x32_i8 v[80:83], a[64:65], a[0:1], v[80:83]// 000000003518: D3D70050 1D420140
	v_mfma_i32_16x16x32_i8 v[80:83], a[66:67], a[2:3], v[80:83]// 000000003520: D3D70050 1D420542
	buffer_load_dwordx4 a[36:39], v42, s[84:87], 0 offen offset:1024// 000000003528: E05C1400 8095242A
	v_mfma_i32_16x16x32_i8 v[80:83], a[68:69], a[4:5], v[80:83]// 000000003530: D3D70050 1D420944
	v_mfma_i32_16x16x32_i8 v[80:83], a[70:71], a[6:7], v[80:83]// 000000003538: D3D70050 1D420D46
	ds_read_b128 a[24:27], v2 offset:4736                      // 000000003540: DBFE1280 18000002
	ds_read_b128 a[28:31], v2 offset:4800                      // 000000003548: DBFE12C0 1C000002
	v_mfma_i32_16x16x32_i8 v[88:91], a[72:73], a[0:1], v[88:91]// 000000003550: D3D70058 1D620148
	v_mfma_i32_16x16x32_i8 v[88:91], a[74:75], a[2:3], v[88:91]// 000000003558: D3D70058 1D62054A
	buffer_load_dwordx4 a[40:43], v43, s[84:87], 0 offen       // 000000003560: E05C1000 8095282B
	v_mfma_i32_16x16x32_i8 v[88:91], a[76:77], a[4:5], v[88:91]// 000000003568: D3D70058 1D62094C
	v_mfma_i32_16x16x32_i8 v[88:91], a[78:79], a[6:7], v[88:91]// 000000003570: D3D70058 1D620D4E
	v_mfma_i32_16x16x32_i8 v[76:79], a[56:57], a[8:9], v[76:79]// 000000003578: D3D7004C 1D321138
	v_mfma_i32_16x16x32_i8 v[76:79], a[58:59], a[10:11], v[76:79]// 000000003580: D3D7004C 1D32153A
	buffer_load_dwordx4 a[44:47], v43, s[84:87], 0 offen offset:1024// 000000003588: E05C1400 80952C2B
	v_mfma_i32_16x16x32_i8 v[76:79], a[60:61], a[12:13], v[76:79]// 000000003590: D3D7004C 1D32193C
	v_mfma_i32_16x16x32_i8 v[76:79], a[62:63], a[14:15], v[76:79]// 000000003598: D3D7004C 1D321D3E
	v_mfma_i32_16x16x32_i8 v[84:87], a[64:65], a[8:9], v[84:87]// 0000000035A0: D3D70054 1D521140
	s_add_u32 s60, 0x180, s80                                  // 0000000035A8: 803C50FF 00000180
	s_cmp_lt_u32 s60, s81                                      // 0000000035B0: BF0A513C
	s_cselect_b32 s57, s57, 0                                  // 0000000035B4: 85398039
	v_mfma_i32_16x16x32_i8 v[84:87], a[66:67], a[10:11], v[84:87]// 0000000035B8: D3D70054 1D521542
	buffer_load_dwordx4 a[48:51], v44, s[84:87], 0 offen       // 0000000035C0: E05C1000 8095302C
	s_add_u32 s60, 0x100, s80                                  // 0000000035C8: 803C50FF 00000100
	s_cmp_lt_u32 s60, s81                                      // 0000000035D0: BF0A513C
	s_cselect_b32 s58, s58, 0                                  // 0000000035D4: 853A803A
	v_mfma_i32_16x16x32_i8 v[84:87], a[68:69], a[12:13], v[84:87]// 0000000035D8: D3D70054 1D521944
	s_add_u32 s60, 0x100, s80                                  // 0000000035E0: 803C50FF 00000100
	s_cmp_lt_u32 s60, s81                                      // 0000000035E8: BF0A513C
	s_cselect_b32 s83, s83, 0                                  // 0000000035EC: 85538053
	v_mfma_i32_16x16x32_i8 v[84:87], a[70:71], a[14:15], v[84:87]// 0000000035F0: D3D70054 1D521D46
	s_add_u32 s24, s58, s24                                    // 0000000035F8: 8018183A
	s_addc_u32 s25, 0, s25                                     // 0000000035FC: 82191980
	v_mfma_i32_16x16x32_i8 v[92:95], a[72:73], a[8:9], v[92:95]// 000000003600: D3D7005C 1D721148
	s_add_u32 s20, s57, s20                                    // 000000003608: 80141439
	s_addc_u32 s21, 0, s21                                     // 00000000360C: 82151580
	v_mfma_i32_16x16x32_i8 v[92:95], a[74:75], a[10:11], v[92:95]// 000000003610: D3D7005C 1D72154A
	buffer_load_dwordx4 a[52:55], v44, s[84:87], 0 offen offset:1024// 000000003618: E05C1400 8095342C
	s_add_u32 s84, s83, s84                                    // 000000003620: 80545453
	s_addc_u32 s85, 0, s85                                     // 000000003624: 82555580
	v_mfma_i32_16x16x32_i8 v[92:95], a[76:77], a[12:13], v[92:95]// 000000003628: D3D7005C 1D72194C
	v_mfma_i32_16x16x32_i8 v[92:95], a[78:79], a[14:15], v[92:95]// 000000003630: D3D7005C 1D721D4E
	s_addk_i32 s80, 0x80                                       // 000000003638: B7500080
	s_cmp_lt_i32 s80, s81                                      // 00000000363C: BF045150
	s_cbranch_scc0 label_05D5                                  // 000000003640: BF840344
	s_waitcnt vmcnt(10) lgkmcnt(0)                             // 000000003644: BF8C007A
	v_mfma_i32_16x16x32_i8 v[48:51], a[80:81], a[16:17], v[48:51]// 000000003648: D3D70030 1CC22150
	v_mfma_i32_16x16x32_i8 v[48:51], a[82:83], a[18:19], v[48:51]// 000000003650: D3D70030 1CC22552
	buffer_load_dwordx4 a[56:59], v42, s[24:27], 0 offen       // 000000003658: E05C1000 8086382A
	v_mfma_i32_16x16x32_i8 v[48:51], a[84:85], a[20:21], v[48:51]// 000000003660: D3D70030 1CC22954
	v_mfma_i32_16x16x32_i8 v[48:51], a[86:87], a[22:23], v[48:51]// 000000003668: D3D70030 1CC22D56
	v_mfma_i32_16x16x32_i8 v[56:59], a[88:89], a[16:17], v[56:59]// 000000003670: D3D70038 1CE22158
	v_mfma_i32_16x16x32_i8 v[56:59], a[90:91], a[18:19], v[56:59]// 000000003678: D3D70038 1CE2255A
	buffer_load_dwordx4 a[60:63], v42, s[24:27], 0 offen offset:1024// 000000003680: E05C1400 80863C2A
	v_mfma_i32_16x16x32_i8 v[56:59], a[92:93], a[20:21], v[56:59]// 000000003688: D3D70038 1CE2295C
	v_mfma_i32_16x16x32_i8 v[56:59], a[94:95], a[22:23], v[56:59]// 000000003690: D3D70038 1CE22D5E
	v_mfma_i32_16x16x32_i8 v[64:67], a[96:97], a[16:17], v[64:67]// 000000003698: D3D70040 1D022160
	v_mfma_i32_16x16x32_i8 v[64:67], a[98:99], a[18:19], v[64:67]// 0000000036A0: D3D70040 1D022562
	buffer_load_dwordx4 a[64:67], v43, s[24:27], 0 offen       // 0000000036A8: E05C1000 8086402B
	v_mfma_i32_16x16x32_i8 v[64:67], a[100:101], a[20:21], v[64:67]// 0000000036B0: D3D70040 1D022964
	v_mfma_i32_16x16x32_i8 v[64:67], a[102:103], a[22:23], v[64:67]// 0000000036B8: D3D70040 1D022D66
	v_mfma_i32_16x16x32_i8 v[52:55], a[80:81], a[24:25], v[52:55]// 0000000036C0: D3D70034 1CD23150
	v_mfma_i32_16x16x32_i8 v[52:55], a[82:83], a[26:27], v[52:55]// 0000000036C8: D3D70034 1CD23552
	buffer_load_dwordx4 a[68:71], v43, s[24:27], 0 offen offset:1024// 0000000036D0: E05C1400 8086442B
	v_mfma_i32_16x16x32_i8 v[52:55], a[84:85], a[28:29], v[52:55]// 0000000036D8: D3D70034 1CD23954
	v_mfma_i32_16x16x32_i8 v[52:55], a[86:87], a[30:31], v[52:55]// 0000000036E0: D3D70034 1CD23D56
	v_mfma_i32_16x16x32_i8 v[60:63], a[88:89], a[24:25], v[60:63]// 0000000036E8: D3D7003C 1CF23158
	v_mfma_i32_16x16x32_i8 v[60:63], a[90:91], a[26:27], v[60:63]// 0000000036F0: D3D7003C 1CF2355A
	buffer_load_dwordx4 a[72:75], v44, s[24:27], 0 offen       // 0000000036F8: E05C1000 8086482C
	v_mfma_i32_16x16x32_i8 v[60:63], a[92:93], a[28:29], v[60:63]// 000000003700: D3D7003C 1CF2395C
	v_mfma_i32_16x16x32_i8 v[60:63], a[94:95], a[30:31], v[60:63]// 000000003708: D3D7003C 1CF23D5E
	v_mfma_i32_16x16x32_i8 v[68:71], a[96:97], a[24:25], v[68:71]// 000000003710: D3D70044 1D123160
	v_mfma_i32_16x16x32_i8 v[68:71], a[98:99], a[26:27], v[68:71]// 000000003718: D3D70044 1D123562
	buffer_load_dwordx4 a[76:79], v44, s[24:27], 0 offen offset:1024// 000000003720: E05C1400 80864C2C
	buffer_load_dword v38, s[20:23], 0 offen lds               // 000000003728: E0511000 80050026
	s_add_u32 m0, 0x100, s48                                   // 000000003730: 807C30FF 00000100
	v_mfma_i32_16x16x32_i8 v[68:71], a[100:101], a[28:29], v[68:71]// 000000003738: D3D70044 1D123964
	v_mfma_i32_16x16x32_i8 v[68:71], a[102:103], a[30:31], v[68:71]// 000000003740: D3D70044 1D123D66
	buffer_load_dword v39, s[20:23], 0 offen lds               // 000000003748: E0511000 80050027
	s_add_u32 m0, 0x200, s48                                   // 000000003750: 807C30FF 00000200
	buffer_load_dword v40, s[20:23], 0 offen lds               // 000000003758: E0511000 80050028
	s_add_u32 m0, 0x300, s48                                   // 000000003760: 807C30FF 00000300
	buffer_load_dword v41, s[20:23], 0 offen lds               // 000000003768: E0511000 80050029
	s_add_u32 m0, 0, s49                                       // 000000003770: 807C3180
	s_waitcnt vmcnt(10)                                        // 000000003774: BF8C0F7A
	s_barrier                                                  // 000000003778: BF8A0000
	v_mfma_i32_16x16x32_i8 v[72:75], a[32:33], a[16:17], v[72:75]// 00000000377C: D3D70048 1D222120
	v_mfma_i32_16x16x32_i8 v[72:75], a[34:35], a[18:19], v[72:75]// 000000003784: D3D70048 1D222522
	buffer_load_dwordx4 a[80:83], v42, s[84:87], 0 offen       // 00000000378C: E05C1000 8095502A
	v_mfma_i32_16x16x32_i8 v[72:75], a[36:37], a[20:21], v[72:75]// 000000003794: D3D70048 1D222924
	v_mfma_i32_16x16x32_i8 v[72:75], a[38:39], a[22:23], v[72:75]// 00000000379C: D3D70048 1D222D26
	ds_read_b128 a[0:3], v2 offset:8448                        // 0000000037A4: DBFE2100 00000002
	ds_read_b128 a[4:7], v2 offset:8512                        // 0000000037AC: DBFE2140 04000002
	v_mfma_i32_16x16x32_i8 v[80:83], a[40:41], a[16:17], v[80:83]// 0000000037B4: D3D70050 1D422128
	v_mfma_i32_16x16x32_i8 v[80:83], a[42:43], a[18:19], v[80:83]// 0000000037BC: D3D70050 1D42252A
	buffer_load_dwordx4 a[84:87], v42, s[84:87], 0 offen offset:1024// 0000000037C4: E05C1400 8095542A
	v_mfma_i32_16x16x32_i8 v[80:83], a[44:45], a[20:21], v[80:83]// 0000000037CC: D3D70050 1D42292C
	v_mfma_i32_16x16x32_i8 v[80:83], a[46:47], a[22:23], v[80:83]// 0000000037D4: D3D70050 1D422D2E
	ds_read_b128 a[8:11], v2 offset:8960                       // 0000000037DC: DBFE2300 08000002
	ds_read_b128 a[12:15], v2 offset:9024                      // 0000000037E4: DBFE2340 0C000002
	v_mfma_i32_16x16x32_i8 v[88:91], a[48:49], a[16:17], v[88:91]// 0000000037EC: D3D70058 1D622130
	v_mfma_i32_16x16x32_i8 v[88:91], a[50:51], a[18:19], v[88:91]// 0000000037F4: D3D70058 1D622532
	buffer_load_dwordx4 a[88:91], v43, s[84:87], 0 offen       // 0000000037FC: E05C1000 8095582B
	v_mfma_i32_16x16x32_i8 v[88:91], a[52:53], a[20:21], v[88:91]// 000000003804: D3D70058 1D622934
	v_mfma_i32_16x16x32_i8 v[88:91], a[54:55], a[22:23], v[88:91]// 00000000380C: D3D70058 1D622D36
	v_mfma_i32_16x16x32_i8 v[76:79], a[32:33], a[24:25], v[76:79]// 000000003814: D3D7004C 1D323120
	v_mfma_i32_16x16x32_i8 v[76:79], a[34:35], a[26:27], v[76:79]// 00000000381C: D3D7004C 1D323522
	buffer_load_dwordx4 a[92:95], v43, s[84:87], 0 offen offset:1024// 000000003824: E05C1400 80955C2B
	v_mfma_i32_16x16x32_i8 v[76:79], a[36:37], a[28:29], v[76:79]// 00000000382C: D3D7004C 1D323924
	v_mfma_i32_16x16x32_i8 v[76:79], a[38:39], a[30:31], v[76:79]// 000000003834: D3D7004C 1D323D26
	v_mfma_i32_16x16x32_i8 v[84:87], a[40:41], a[24:25], v[84:87]// 00000000383C: D3D70054 1D523128
	s_add_u32 s60, 0x180, s80                                  // 000000003844: 803C50FF 00000180
	s_cmp_lt_u32 s60, s81                                      // 00000000384C: BF0A513C
	s_cselect_b32 s57, s57, 0                                  // 000000003850: 85398039
	v_mfma_i32_16x16x32_i8 v[84:87], a[42:43], a[26:27], v[84:87]// 000000003854: D3D70054 1D52352A
	buffer_load_dwordx4 a[96:99], v44, s[84:87], 0 offen       // 00000000385C: E05C1000 8095602C
	s_add_u32 s60, 0x100, s80                                  // 000000003864: 803C50FF 00000100
	s_cmp_lt_u32 s60, s81                                      // 00000000386C: BF0A513C
	s_cselect_b32 s58, s58, 0                                  // 000000003870: 853A803A
	v_mfma_i32_16x16x32_i8 v[84:87], a[44:45], a[28:29], v[84:87]// 000000003874: D3D70054 1D52392C
	s_add_u32 s60, 0x100, s80                                  // 00000000387C: 803C50FF 00000100
	s_cmp_lt_u32 s60, s81                                      // 000000003884: BF0A513C
	s_cselect_b32 s83, s83, 0                                  // 000000003888: 85538053
	v_mfma_i32_16x16x32_i8 v[84:87], a[46:47], a[30:31], v[84:87]// 00000000388C: D3D70054 1D523D2E
	s_add_u32 s24, s58, s24                                    // 000000003894: 8018183A
	s_addc_u32 s25, 0, s25                                     // 000000003898: 82191980
	v_mfma_i32_16x16x32_i8 v[92:95], a[48:49], a[24:25], v[92:95]// 00000000389C: D3D7005C 1D723130
	s_add_u32 s20, s57, s20                                    // 0000000038A4: 80141439
	s_addc_u32 s21, 0, s21                                     // 0000000038A8: 82151580
	v_mfma_i32_16x16x32_i8 v[92:95], a[50:51], a[26:27], v[92:95]// 0000000038AC: D3D7005C 1D723532
	buffer_load_dwordx4 a[100:103], v44, s[84:87], 0 offen offset:1024// 0000000038B4: E05C1400 8095642C
	s_add_u32 s84, s83, s84                                    // 0000000038BC: 80545453
	s_addc_u32 s85, 0, s85                                     // 0000000038C0: 82555580
	v_mfma_i32_16x16x32_i8 v[92:95], a[52:53], a[28:29], v[92:95]// 0000000038C4: D3D7005C 1D723934
	v_mfma_i32_16x16x32_i8 v[92:95], a[54:55], a[30:31], v[92:95]// 0000000038CC: D3D7005C 1D723D36
	s_addk_i32 s80, 0x80                                       // 0000000038D4: B7500080
	s_cmp_lt_i32 s80, s81                                      // 0000000038D8: BF045150
	s_cbranch_scc0 label_05D5                                  // 0000000038DC: BF84029D
	s_waitcnt vmcnt(10) lgkmcnt(0)                             // 0000000038E0: BF8C007A
	v_mfma_i32_16x16x32_i8 v[48:51], a[56:57], a[0:1], v[48:51]// 0000000038E4: D3D70030 1CC20138
	v_mfma_i32_16x16x32_i8 v[48:51], a[58:59], a[2:3], v[48:51]// 0000000038EC: D3D70030 1CC2053A
	buffer_load_dwordx4 a[32:35], v42, s[24:27], 0 offen       // 0000000038F4: E05C1000 8086202A
	v_mfma_i32_16x16x32_i8 v[48:51], a[60:61], a[4:5], v[48:51]// 0000000038FC: D3D70030 1CC2093C
	v_mfma_i32_16x16x32_i8 v[48:51], a[62:63], a[6:7], v[48:51]// 000000003904: D3D70030 1CC20D3E
	v_mfma_i32_16x16x32_i8 v[56:59], a[64:65], a[0:1], v[56:59]// 00000000390C: D3D70038 1CE20140
	v_mfma_i32_16x16x32_i8 v[56:59], a[66:67], a[2:3], v[56:59]// 000000003914: D3D70038 1CE20542
	buffer_load_dwordx4 a[36:39], v42, s[24:27], 0 offen offset:1024// 00000000391C: E05C1400 8086242A
	v_mfma_i32_16x16x32_i8 v[56:59], a[68:69], a[4:5], v[56:59]// 000000003924: D3D70038 1CE20944
	v_mfma_i32_16x16x32_i8 v[56:59], a[70:71], a[6:7], v[56:59]// 00000000392C: D3D70038 1CE20D46
	v_mfma_i32_16x16x32_i8 v[64:67], a[72:73], a[0:1], v[64:67]// 000000003934: D3D70040 1D020148
	v_mfma_i32_16x16x32_i8 v[64:67], a[74:75], a[2:3], v[64:67]// 00000000393C: D3D70040 1D02054A
	buffer_load_dwordx4 a[40:43], v43, s[24:27], 0 offen       // 000000003944: E05C1000 8086282B
	v_mfma_i32_16x16x32_i8 v[64:67], a[76:77], a[4:5], v[64:67]// 00000000394C: D3D70040 1D02094C
	v_mfma_i32_16x16x32_i8 v[64:67], a[78:79], a[6:7], v[64:67]// 000000003954: D3D70040 1D020D4E
	v_mfma_i32_16x16x32_i8 v[52:55], a[56:57], a[8:9], v[52:55]// 00000000395C: D3D70034 1CD21138
	v_mfma_i32_16x16x32_i8 v[52:55], a[58:59], a[10:11], v[52:55]// 000000003964: D3D70034 1CD2153A
	buffer_load_dwordx4 a[44:47], v43, s[24:27], 0 offen offset:1024// 00000000396C: E05C1400 80862C2B
	v_mfma_i32_16x16x32_i8 v[52:55], a[60:61], a[12:13], v[52:55]// 000000003974: D3D70034 1CD2193C
	v_mfma_i32_16x16x32_i8 v[52:55], a[62:63], a[14:15], v[52:55]// 00000000397C: D3D70034 1CD21D3E
	v_mfma_i32_16x16x32_i8 v[60:63], a[64:65], a[8:9], v[60:63]// 000000003984: D3D7003C 1CF21140
	v_mfma_i32_16x16x32_i8 v[60:63], a[66:67], a[10:11], v[60:63]// 00000000398C: D3D7003C 1CF21542
	buffer_load_dwordx4 a[48:51], v44, s[24:27], 0 offen       // 000000003994: E05C1000 8086302C
	v_mfma_i32_16x16x32_i8 v[60:63], a[68:69], a[12:13], v[60:63]// 00000000399C: D3D7003C 1CF21944
	v_mfma_i32_16x16x32_i8 v[60:63], a[70:71], a[14:15], v[60:63]// 0000000039A4: D3D7003C 1CF21D46
	v_mfma_i32_16x16x32_i8 v[68:71], a[72:73], a[8:9], v[68:71]// 0000000039AC: D3D70044 1D121148
	v_mfma_i32_16x16x32_i8 v[68:71], a[74:75], a[10:11], v[68:71]// 0000000039B4: D3D70044 1D12154A
	buffer_load_dwordx4 a[52:55], v44, s[24:27], 0 offen offset:1024// 0000000039BC: E05C1400 8086342C
	buffer_load_dword v38, s[20:23], 0 offen lds               // 0000000039C4: E0511000 80050026
	s_add_u32 m0, 0x100, s49                                   // 0000000039CC: 807C31FF 00000100
	v_mfma_i32_16x16x32_i8 v[68:71], a[76:77], a[12:13], v[68:71]// 0000000039D4: D3D70044 1D12194C
	v_mfma_i32_16x16x32_i8 v[68:71], a[78:79], a[14:15], v[68:71]// 0000000039DC: D3D70044 1D121D4E
	buffer_load_dword v39, s[20:23], 0 offen lds               // 0000000039E4: E0511000 80050027
	s_add_u32 m0, 0x200, s49                                   // 0000000039EC: 807C31FF 00000200
	buffer_load_dword v40, s[20:23], 0 offen lds               // 0000000039F4: E0511000 80050028
	s_add_u32 m0, 0x300, s49                                   // 0000000039FC: 807C31FF 00000300
	buffer_load_dword v41, s[20:23], 0 offen lds               // 000000003A04: E0511000 80050029
	s_add_u32 m0, 0, s50                                       // 000000003A0C: 807C3280
	s_waitcnt vmcnt(10)                                        // 000000003A10: BF8C0F7A
	s_barrier                                                  // 000000003A14: BF8A0000
	v_mfma_i32_16x16x32_i8 v[72:75], a[80:81], a[0:1], v[72:75]// 000000003A18: D3D70048 1D220150
	v_mfma_i32_16x16x32_i8 v[72:75], a[82:83], a[2:3], v[72:75]// 000000003A20: D3D70048 1D220552
	buffer_load_dwordx4 a[56:59], v42, s[84:87], 0 offen       // 000000003A28: E05C1000 8095382A
	v_mfma_i32_16x16x32_i8 v[72:75], a[84:85], a[4:5], v[72:75]// 000000003A30: D3D70048 1D220954
	v_mfma_i32_16x16x32_i8 v[72:75], a[86:87], a[6:7], v[72:75]// 000000003A38: D3D70048 1D220D56
	ds_read_b128 a[16:19], v2                                  // 000000003A40: DBFE0000 10000002
	ds_read_b128 a[20:23], v2 offset:64                        // 000000003A48: DBFE0040 14000002
	v_mfma_i32_16x16x32_i8 v[80:83], a[88:89], a[0:1], v[80:83]// 000000003A50: D3D70050 1D420158
	v_mfma_i32_16x16x32_i8 v[80:83], a[90:91], a[2:3], v[80:83]// 000000003A58: D3D70050 1D42055A
	buffer_load_dwordx4 a[60:63], v42, s[84:87], 0 offen offset:1024// 000000003A60: E05C1400 80953C2A
	v_mfma_i32_16x16x32_i8 v[80:83], a[92:93], a[4:5], v[80:83]// 000000003A68: D3D70050 1D42095C
	v_mfma_i32_16x16x32_i8 v[80:83], a[94:95], a[6:7], v[80:83]// 000000003A70: D3D70050 1D420D5E
	ds_read_b128 a[24:27], v2 offset:512                       // 000000003A78: DBFE0200 18000002
	ds_read_b128 a[28:31], v2 offset:576                       // 000000003A80: DBFE0240 1C000002
	v_mfma_i32_16x16x32_i8 v[88:91], a[96:97], a[0:1], v[88:91]// 000000003A88: D3D70058 1D620160
	v_mfma_i32_16x16x32_i8 v[88:91], a[98:99], a[2:3], v[88:91]// 000000003A90: D3D70058 1D620562
	buffer_load_dwordx4 a[64:67], v43, s[84:87], 0 offen       // 000000003A98: E05C1000 8095402B
	v_mfma_i32_16x16x32_i8 v[88:91], a[100:101], a[4:5], v[88:91]// 000000003AA0: D3D70058 1D620964
	v_mfma_i32_16x16x32_i8 v[88:91], a[102:103], a[6:7], v[88:91]// 000000003AA8: D3D70058 1D620D66
	v_mfma_i32_16x16x32_i8 v[76:79], a[80:81], a[8:9], v[76:79]// 000000003AB0: D3D7004C 1D321150
	v_mfma_i32_16x16x32_i8 v[76:79], a[82:83], a[10:11], v[76:79]// 000000003AB8: D3D7004C 1D321552
	buffer_load_dwordx4 a[68:71], v43, s[84:87], 0 offen offset:1024// 000000003AC0: E05C1400 8095442B
	v_mfma_i32_16x16x32_i8 v[76:79], a[84:85], a[12:13], v[76:79]// 000000003AC8: D3D7004C 1D321954
	v_mfma_i32_16x16x32_i8 v[76:79], a[86:87], a[14:15], v[76:79]// 000000003AD0: D3D7004C 1D321D56
	v_mfma_i32_16x16x32_i8 v[84:87], a[88:89], a[8:9], v[84:87]// 000000003AD8: D3D70054 1D521158
	s_add_u32 s60, 0x180, s80                                  // 000000003AE0: 803C50FF 00000180
	s_cmp_lt_u32 s60, s81                                      // 000000003AE8: BF0A513C
	s_cselect_b32 s57, s57, 0                                  // 000000003AEC: 85398039
	v_mfma_i32_16x16x32_i8 v[84:87], a[90:91], a[10:11], v[84:87]// 000000003AF0: D3D70054 1D52155A
	buffer_load_dwordx4 a[72:75], v44, s[84:87], 0 offen       // 000000003AF8: E05C1000 8095482C
	s_add_u32 s60, 0x100, s80                                  // 000000003B00: 803C50FF 00000100
	s_cmp_lt_u32 s60, s81                                      // 000000003B08: BF0A513C
	s_cselect_b32 s58, s58, 0                                  // 000000003B0C: 853A803A
	v_mfma_i32_16x16x32_i8 v[84:87], a[92:93], a[12:13], v[84:87]// 000000003B10: D3D70054 1D52195C
	s_add_u32 s60, 0x100, s80                                  // 000000003B18: 803C50FF 00000100
	s_cmp_lt_u32 s60, s81                                      // 000000003B20: BF0A513C
	s_cselect_b32 s83, s83, 0                                  // 000000003B24: 85538053
	v_mfma_i32_16x16x32_i8 v[84:87], a[94:95], a[14:15], v[84:87]// 000000003B28: D3D70054 1D521D5E
	s_add_u32 s24, s58, s24                                    // 000000003B30: 8018183A
	s_addc_u32 s25, 0, s25                                     // 000000003B34: 82191980
	v_mfma_i32_16x16x32_i8 v[92:95], a[96:97], a[8:9], v[92:95]// 000000003B38: D3D7005C 1D721160
	s_add_u32 s20, s57, s20                                    // 000000003B40: 80141439
	s_addc_u32 s21, 0, s21                                     // 000000003B44: 82151580
	v_mfma_i32_16x16x32_i8 v[92:95], a[98:99], a[10:11], v[92:95]// 000000003B48: D3D7005C 1D721562
	buffer_load_dwordx4 a[76:79], v44, s[84:87], 0 offen offset:1024// 000000003B50: E05C1400 80954C2C
	s_add_u32 s84, s83, s84                                    // 000000003B58: 80545453
	s_addc_u32 s85, 0, s85                                     // 000000003B5C: 82555580
	v_mfma_i32_16x16x32_i8 v[92:95], a[100:101], a[12:13], v[92:95]// 000000003B60: D3D7005C 1D721964
	v_mfma_i32_16x16x32_i8 v[92:95], a[102:103], a[14:15], v[92:95]// 000000003B68: D3D7005C 1D721D66
	s_addk_i32 s80, 0x80                                       // 000000003B70: B7500080
	s_cmp_lt_i32 s80, s81                                      // 000000003B74: BF045150
	s_cbranch_scc0 label_05D5                                  // 000000003B78: BF8401F6
	s_waitcnt vmcnt(10) lgkmcnt(0)                             // 000000003B7C: BF8C007A
	v_mfma_i32_16x16x32_i8 v[48:51], a[32:33], a[16:17], v[48:51]// 000000003B80: D3D70030 1CC22120
	v_mfma_i32_16x16x32_i8 v[48:51], a[34:35], a[18:19], v[48:51]// 000000003B88: D3D70030 1CC22522
	buffer_load_dwordx4 a[80:83], v42, s[24:27], 0 offen       // 000000003B90: E05C1000 8086502A
	v_mfma_i32_16x16x32_i8 v[48:51], a[36:37], a[20:21], v[48:51]// 000000003B98: D3D70030 1CC22924
	v_mfma_i32_16x16x32_i8 v[48:51], a[38:39], a[22:23], v[48:51]// 000000003BA0: D3D70030 1CC22D26
	v_mfma_i32_16x16x32_i8 v[56:59], a[40:41], a[16:17], v[56:59]// 000000003BA8: D3D70038 1CE22128
	v_mfma_i32_16x16x32_i8 v[56:59], a[42:43], a[18:19], v[56:59]// 000000003BB0: D3D70038 1CE2252A
	buffer_load_dwordx4 a[84:87], v42, s[24:27], 0 offen offset:1024// 000000003BB8: E05C1400 8086542A
	v_mfma_i32_16x16x32_i8 v[56:59], a[44:45], a[20:21], v[56:59]// 000000003BC0: D3D70038 1CE2292C
	v_mfma_i32_16x16x32_i8 v[56:59], a[46:47], a[22:23], v[56:59]// 000000003BC8: D3D70038 1CE22D2E
	v_mfma_i32_16x16x32_i8 v[64:67], a[48:49], a[16:17], v[64:67]// 000000003BD0: D3D70040 1D022130
	v_mfma_i32_16x16x32_i8 v[64:67], a[50:51], a[18:19], v[64:67]// 000000003BD8: D3D70040 1D022532
	buffer_load_dwordx4 a[88:91], v43, s[24:27], 0 offen       // 000000003BE0: E05C1000 8086582B
	v_mfma_i32_16x16x32_i8 v[64:67], a[52:53], a[20:21], v[64:67]// 000000003BE8: D3D70040 1D022934
	v_mfma_i32_16x16x32_i8 v[64:67], a[54:55], a[22:23], v[64:67]// 000000003BF0: D3D70040 1D022D36
	v_mfma_i32_16x16x32_i8 v[52:55], a[32:33], a[24:25], v[52:55]// 000000003BF8: D3D70034 1CD23120
	v_mfma_i32_16x16x32_i8 v[52:55], a[34:35], a[26:27], v[52:55]// 000000003C00: D3D70034 1CD23522
	buffer_load_dwordx4 a[92:95], v43, s[24:27], 0 offen offset:1024// 000000003C08: E05C1400 80865C2B
	v_mfma_i32_16x16x32_i8 v[52:55], a[36:37], a[28:29], v[52:55]// 000000003C10: D3D70034 1CD23924
	v_mfma_i32_16x16x32_i8 v[52:55], a[38:39], a[30:31], v[52:55]// 000000003C18: D3D70034 1CD23D26
	v_mfma_i32_16x16x32_i8 v[60:63], a[40:41], a[24:25], v[60:63]// 000000003C20: D3D7003C 1CF23128
	v_mfma_i32_16x16x32_i8 v[60:63], a[42:43], a[26:27], v[60:63]// 000000003C28: D3D7003C 1CF2352A
	buffer_load_dwordx4 a[96:99], v44, s[24:27], 0 offen       // 000000003C30: E05C1000 8086602C
	v_mfma_i32_16x16x32_i8 v[60:63], a[44:45], a[28:29], v[60:63]// 000000003C38: D3D7003C 1CF2392C
	v_mfma_i32_16x16x32_i8 v[60:63], a[46:47], a[30:31], v[60:63]// 000000003C40: D3D7003C 1CF23D2E
	v_mfma_i32_16x16x32_i8 v[68:71], a[48:49], a[24:25], v[68:71]// 000000003C48: D3D70044 1D123130
	v_mfma_i32_16x16x32_i8 v[68:71], a[50:51], a[26:27], v[68:71]// 000000003C50: D3D70044 1D123532
	buffer_load_dwordx4 a[100:103], v44, s[24:27], 0 offen offset:1024// 000000003C58: E05C1400 8086642C
	buffer_load_dword v38, s[20:23], 0 offen lds               // 000000003C60: E0511000 80050026
	s_add_u32 m0, 0x100, s50                                   // 000000003C68: 807C32FF 00000100
	v_mfma_i32_16x16x32_i8 v[68:71], a[52:53], a[28:29], v[68:71]// 000000003C70: D3D70044 1D123934
	v_mfma_i32_16x16x32_i8 v[68:71], a[54:55], a[30:31], v[68:71]// 000000003C78: D3D70044 1D123D36
	buffer_load_dword v39, s[20:23], 0 offen lds               // 000000003C80: E0511000 80050027
	s_add_u32 m0, 0x200, s50                                   // 000000003C88: 807C32FF 00000200
	buffer_load_dword v40, s[20:23], 0 offen lds               // 000000003C90: E0511000 80050028
	s_add_u32 m0, 0x300, s50                                   // 000000003C98: 807C32FF 00000300
	buffer_load_dword v41, s[20:23], 0 offen lds               // 000000003CA0: E0511000 80050029
	s_add_u32 m0, 0, s48                                       // 000000003CA8: 807C3080
	s_waitcnt vmcnt(10)                                        // 000000003CAC: BF8C0F7A
	s_barrier                                                  // 000000003CB0: BF8A0000
	v_mfma_i32_16x16x32_i8 v[72:75], a[56:57], a[16:17], v[72:75]// 000000003CB4: D3D70048 1D222138
	v_mfma_i32_16x16x32_i8 v[72:75], a[58:59], a[18:19], v[72:75]// 000000003CBC: D3D70048 1D22253A
	buffer_load_dwordx4 a[32:35], v42, s[84:87], 0 offen       // 000000003CC4: E05C1000 8095202A
	v_mfma_i32_16x16x32_i8 v[72:75], a[60:61], a[20:21], v[72:75]// 000000003CCC: D3D70048 1D22293C
	v_mfma_i32_16x16x32_i8 v[72:75], a[62:63], a[22:23], v[72:75]// 000000003CD4: D3D70048 1D222D3E
	ds_read_b128 a[0:3], v2 offset:4224                        // 000000003CDC: DBFE1080 00000002
	ds_read_b128 a[4:7], v2 offset:4288                        // 000000003CE4: DBFE10C0 04000002
	v_mfma_i32_16x16x32_i8 v[80:83], a[64:65], a[16:17], v[80:83]// 000000003CEC: D3D70050 1D422140
	v_mfma_i32_16x16x32_i8 v[80:83], a[66:67], a[18:19], v[80:83]// 000000003CF4: D3D70050 1D422542
	buffer_load_dwordx4 a[36:39], v42, s[84:87], 0 offen offset:1024// 000000003CFC: E05C1400 8095242A
	v_mfma_i32_16x16x32_i8 v[80:83], a[68:69], a[20:21], v[80:83]// 000000003D04: D3D70050 1D422944
	v_mfma_i32_16x16x32_i8 v[80:83], a[70:71], a[22:23], v[80:83]// 000000003D0C: D3D70050 1D422D46
	ds_read_b128 a[8:11], v2 offset:4736                       // 000000003D14: DBFE1280 08000002
	ds_read_b128 a[12:15], v2 offset:4800                      // 000000003D1C: DBFE12C0 0C000002
	v_mfma_i32_16x16x32_i8 v[88:91], a[72:73], a[16:17], v[88:91]// 000000003D24: D3D70058 1D622148
	v_mfma_i32_16x16x32_i8 v[88:91], a[74:75], a[18:19], v[88:91]// 000000003D2C: D3D70058 1D62254A
	buffer_load_dwordx4 a[40:43], v43, s[84:87], 0 offen       // 000000003D34: E05C1000 8095282B
	v_mfma_i32_16x16x32_i8 v[88:91], a[76:77], a[20:21], v[88:91]// 000000003D3C: D3D70058 1D62294C
	v_mfma_i32_16x16x32_i8 v[88:91], a[78:79], a[22:23], v[88:91]// 000000003D44: D3D70058 1D622D4E
	v_mfma_i32_16x16x32_i8 v[76:79], a[56:57], a[24:25], v[76:79]// 000000003D4C: D3D7004C 1D323138
	v_mfma_i32_16x16x32_i8 v[76:79], a[58:59], a[26:27], v[76:79]// 000000003D54: D3D7004C 1D32353A
	buffer_load_dwordx4 a[44:47], v43, s[84:87], 0 offen offset:1024// 000000003D5C: E05C1400 80952C2B
	v_mfma_i32_16x16x32_i8 v[76:79], a[60:61], a[28:29], v[76:79]// 000000003D64: D3D7004C 1D32393C
	v_mfma_i32_16x16x32_i8 v[76:79], a[62:63], a[30:31], v[76:79]// 000000003D6C: D3D7004C 1D323D3E
	v_mfma_i32_16x16x32_i8 v[84:87], a[64:65], a[24:25], v[84:87]// 000000003D74: D3D70054 1D523140
	s_add_u32 s60, 0x180, s80                                  // 000000003D7C: 803C50FF 00000180
	s_cmp_lt_u32 s60, s81                                      // 000000003D84: BF0A513C
	s_cselect_b32 s57, s57, 0                                  // 000000003D88: 85398039
	v_mfma_i32_16x16x32_i8 v[84:87], a[66:67], a[26:27], v[84:87]// 000000003D8C: D3D70054 1D523542
	buffer_load_dwordx4 a[48:51], v44, s[84:87], 0 offen       // 000000003D94: E05C1000 8095302C
	s_add_u32 s60, 0x100, s80                                  // 000000003D9C: 803C50FF 00000100
	s_cmp_lt_u32 s60, s81                                      // 000000003DA4: BF0A513C
	s_cselect_b32 s58, s58, 0                                  // 000000003DA8: 853A803A
	v_mfma_i32_16x16x32_i8 v[84:87], a[68:69], a[28:29], v[84:87]// 000000003DAC: D3D70054 1D523944
	s_add_u32 s60, 0x100, s80                                  // 000000003DB4: 803C50FF 00000100
	s_cmp_lt_u32 s60, s81                                      // 000000003DBC: BF0A513C
	s_cselect_b32 s83, s83, 0                                  // 000000003DC0: 85538053
	v_mfma_i32_16x16x32_i8 v[84:87], a[70:71], a[30:31], v[84:87]// 000000003DC4: D3D70054 1D523D46
	s_add_u32 s24, s58, s24                                    // 000000003DCC: 8018183A
	s_addc_u32 s25, 0, s25                                     // 000000003DD0: 82191980
	v_mfma_i32_16x16x32_i8 v[92:95], a[72:73], a[24:25], v[92:95]// 000000003DD4: D3D7005C 1D723148
	s_add_u32 s20, s57, s20                                    // 000000003DDC: 80141439
	s_addc_u32 s21, 0, s21                                     // 000000003DE0: 82151580
	v_mfma_i32_16x16x32_i8 v[92:95], a[74:75], a[26:27], v[92:95]// 000000003DE4: D3D7005C 1D72354A
	buffer_load_dwordx4 a[52:55], v44, s[84:87], 0 offen offset:1024// 000000003DEC: E05C1400 8095342C
	s_add_u32 s84, s83, s84                                    // 000000003DF4: 80545453
	s_addc_u32 s85, 0, s85                                     // 000000003DF8: 82555580
	v_mfma_i32_16x16x32_i8 v[92:95], a[76:77], a[28:29], v[92:95]// 000000003DFC: D3D7005C 1D72394C
	v_mfma_i32_16x16x32_i8 v[92:95], a[78:79], a[30:31], v[92:95]// 000000003E04: D3D7005C 1D723D4E
	s_addk_i32 s80, 0x80                                       // 000000003E0C: B7500080
	s_cmp_lt_i32 s80, s81                                      // 000000003E10: BF045150
	s_cbranch_scc0 label_05D5                                  // 000000003E14: BF84014F
	s_waitcnt vmcnt(10) lgkmcnt(0)                             // 000000003E18: BF8C007A
	v_mfma_i32_16x16x32_i8 v[48:51], a[80:81], a[0:1], v[48:51]// 000000003E1C: D3D70030 1CC20150
	v_mfma_i32_16x16x32_i8 v[48:51], a[82:83], a[2:3], v[48:51]// 000000003E24: D3D70030 1CC20552
	buffer_load_dwordx4 a[56:59], v42, s[24:27], 0 offen       // 000000003E2C: E05C1000 8086382A
	v_mfma_i32_16x16x32_i8 v[48:51], a[84:85], a[4:5], v[48:51]// 000000003E34: D3D70030 1CC20954
	v_mfma_i32_16x16x32_i8 v[48:51], a[86:87], a[6:7], v[48:51]// 000000003E3C: D3D70030 1CC20D56
	v_mfma_i32_16x16x32_i8 v[56:59], a[88:89], a[0:1], v[56:59]// 000000003E44: D3D70038 1CE20158
	v_mfma_i32_16x16x32_i8 v[56:59], a[90:91], a[2:3], v[56:59]// 000000003E4C: D3D70038 1CE2055A
	buffer_load_dwordx4 a[60:63], v42, s[24:27], 0 offen offset:1024// 000000003E54: E05C1400 80863C2A
	v_mfma_i32_16x16x32_i8 v[56:59], a[92:93], a[4:5], v[56:59]// 000000003E5C: D3D70038 1CE2095C
	v_mfma_i32_16x16x32_i8 v[56:59], a[94:95], a[6:7], v[56:59]// 000000003E64: D3D70038 1CE20D5E
	v_mfma_i32_16x16x32_i8 v[64:67], a[96:97], a[0:1], v[64:67]// 000000003E6C: D3D70040 1D020160
	v_mfma_i32_16x16x32_i8 v[64:67], a[98:99], a[2:3], v[64:67]// 000000003E74: D3D70040 1D020562
	buffer_load_dwordx4 a[64:67], v43, s[24:27], 0 offen       // 000000003E7C: E05C1000 8086402B
	v_mfma_i32_16x16x32_i8 v[64:67], a[100:101], a[4:5], v[64:67]// 000000003E84: D3D70040 1D020964
	v_mfma_i32_16x16x32_i8 v[64:67], a[102:103], a[6:7], v[64:67]// 000000003E8C: D3D70040 1D020D66
	v_mfma_i32_16x16x32_i8 v[52:55], a[80:81], a[8:9], v[52:55]// 000000003E94: D3D70034 1CD21150
	v_mfma_i32_16x16x32_i8 v[52:55], a[82:83], a[10:11], v[52:55]// 000000003E9C: D3D70034 1CD21552
	buffer_load_dwordx4 a[68:71], v43, s[24:27], 0 offen offset:1024// 000000003EA4: E05C1400 8086442B
	v_mfma_i32_16x16x32_i8 v[52:55], a[84:85], a[12:13], v[52:55]// 000000003EAC: D3D70034 1CD21954
	v_mfma_i32_16x16x32_i8 v[52:55], a[86:87], a[14:15], v[52:55]// 000000003EB4: D3D70034 1CD21D56
	v_mfma_i32_16x16x32_i8 v[60:63], a[88:89], a[8:9], v[60:63]// 000000003EBC: D3D7003C 1CF21158
	v_mfma_i32_16x16x32_i8 v[60:63], a[90:91], a[10:11], v[60:63]// 000000003EC4: D3D7003C 1CF2155A
	buffer_load_dwordx4 a[72:75], v44, s[24:27], 0 offen       // 000000003ECC: E05C1000 8086482C
	v_mfma_i32_16x16x32_i8 v[60:63], a[92:93], a[12:13], v[60:63]// 000000003ED4: D3D7003C 1CF2195C
	v_mfma_i32_16x16x32_i8 v[60:63], a[94:95], a[14:15], v[60:63]// 000000003EDC: D3D7003C 1CF21D5E
	v_mfma_i32_16x16x32_i8 v[68:71], a[96:97], a[8:9], v[68:71]// 000000003EE4: D3D70044 1D121160
	v_mfma_i32_16x16x32_i8 v[68:71], a[98:99], a[10:11], v[68:71]// 000000003EEC: D3D70044 1D121562
	buffer_load_dwordx4 a[76:79], v44, s[24:27], 0 offen offset:1024// 000000003EF4: E05C1400 80864C2C
	buffer_load_dword v38, s[20:23], 0 offen lds               // 000000003EFC: E0511000 80050026
	s_add_u32 m0, 0x100, s48                                   // 000000003F04: 807C30FF 00000100
	v_mfma_i32_16x16x32_i8 v[68:71], a[100:101], a[12:13], v[68:71]// 000000003F0C: D3D70044 1D121964
	v_mfma_i32_16x16x32_i8 v[68:71], a[102:103], a[14:15], v[68:71]// 000000003F14: D3D70044 1D121D66
	buffer_load_dword v39, s[20:23], 0 offen lds               // 000000003F1C: E0511000 80050027
	s_add_u32 m0, 0x200, s48                                   // 000000003F24: 807C30FF 00000200
	buffer_load_dword v40, s[20:23], 0 offen lds               // 000000003F2C: E0511000 80050028
	s_add_u32 m0, 0x300, s48                                   // 000000003F34: 807C30FF 00000300
	buffer_load_dword v41, s[20:23], 0 offen lds               // 000000003F3C: E0511000 80050029
	s_add_u32 m0, 0, s49                                       // 000000003F44: 807C3180
	s_waitcnt vmcnt(10)                                        // 000000003F48: BF8C0F7A
	s_barrier                                                  // 000000003F4C: BF8A0000
	v_mfma_i32_16x16x32_i8 v[72:75], a[32:33], a[0:1], v[72:75]// 000000003F50: D3D70048 1D220120
	v_mfma_i32_16x16x32_i8 v[72:75], a[34:35], a[2:3], v[72:75]// 000000003F58: D3D70048 1D220522
	buffer_load_dwordx4 a[80:83], v42, s[84:87], 0 offen       // 000000003F60: E05C1000 8095502A
	v_mfma_i32_16x16x32_i8 v[72:75], a[36:37], a[4:5], v[72:75]// 000000003F68: D3D70048 1D220924
	v_mfma_i32_16x16x32_i8 v[72:75], a[38:39], a[6:7], v[72:75]// 000000003F70: D3D70048 1D220D26
	ds_read_b128 a[16:19], v2 offset:8448                      // 000000003F78: DBFE2100 10000002
	ds_read_b128 a[20:23], v2 offset:8512                      // 000000003F80: DBFE2140 14000002
	v_mfma_i32_16x16x32_i8 v[80:83], a[40:41], a[0:1], v[80:83]// 000000003F88: D3D70050 1D420128
	v_mfma_i32_16x16x32_i8 v[80:83], a[42:43], a[2:3], v[80:83]// 000000003F90: D3D70050 1D42052A
	buffer_load_dwordx4 a[84:87], v42, s[84:87], 0 offen offset:1024// 000000003F98: E05C1400 8095542A
	v_mfma_i32_16x16x32_i8 v[80:83], a[44:45], a[4:5], v[80:83]// 000000003FA0: D3D70050 1D42092C
	v_mfma_i32_16x16x32_i8 v[80:83], a[46:47], a[6:7], v[80:83]// 000000003FA8: D3D70050 1D420D2E
	ds_read_b128 a[24:27], v2 offset:8960                      // 000000003FB0: DBFE2300 18000002
	ds_read_b128 a[28:31], v2 offset:9024                      // 000000003FB8: DBFE2340 1C000002
	v_mfma_i32_16x16x32_i8 v[88:91], a[48:49], a[0:1], v[88:91]// 000000003FC0: D3D70058 1D620130
	v_mfma_i32_16x16x32_i8 v[88:91], a[50:51], a[2:3], v[88:91]// 000000003FC8: D3D70058 1D620532
	buffer_load_dwordx4 a[88:91], v43, s[84:87], 0 offen       // 000000003FD0: E05C1000 8095582B
	v_mfma_i32_16x16x32_i8 v[88:91], a[52:53], a[4:5], v[88:91]// 000000003FD8: D3D70058 1D620934
	v_mfma_i32_16x16x32_i8 v[88:91], a[54:55], a[6:7], v[88:91]// 000000003FE0: D3D70058 1D620D36
	v_mfma_i32_16x16x32_i8 v[76:79], a[32:33], a[8:9], v[76:79]// 000000003FE8: D3D7004C 1D321120
	v_mfma_i32_16x16x32_i8 v[76:79], a[34:35], a[10:11], v[76:79]// 000000003FF0: D3D7004C 1D321522
	buffer_load_dwordx4 a[92:95], v43, s[84:87], 0 offen offset:1024// 000000003FF8: E05C1400 80955C2B
	v_mfma_i32_16x16x32_i8 v[76:79], a[36:37], a[12:13], v[76:79]// 000000004000: D3D7004C 1D321924
	v_mfma_i32_16x16x32_i8 v[76:79], a[38:39], a[14:15], v[76:79]// 000000004008: D3D7004C 1D321D26
	v_mfma_i32_16x16x32_i8 v[84:87], a[40:41], a[8:9], v[84:87]// 000000004010: D3D70054 1D521128
	s_add_u32 s60, 0x180, s80                                  // 000000004018: 803C50FF 00000180
	s_cmp_lt_u32 s60, s81                                      // 000000004020: BF0A513C
	s_cselect_b32 s57, s57, 0                                  // 000000004024: 85398039
	v_mfma_i32_16x16x32_i8 v[84:87], a[42:43], a[10:11], v[84:87]// 000000004028: D3D70054 1D52152A
	buffer_load_dwordx4 a[96:99], v44, s[84:87], 0 offen       // 000000004030: E05C1000 8095602C
	s_add_u32 s60, 0x100, s80                                  // 000000004038: 803C50FF 00000100
	s_cmp_lt_u32 s60, s81                                      // 000000004040: BF0A513C
	s_cselect_b32 s58, s58, 0                                  // 000000004044: 853A803A
	v_mfma_i32_16x16x32_i8 v[84:87], a[44:45], a[12:13], v[84:87]// 000000004048: D3D70054 1D52192C
	s_add_u32 s60, 0x100, s80                                  // 000000004050: 803C50FF 00000100
	s_cmp_lt_u32 s60, s81                                      // 000000004058: BF0A513C
	s_cselect_b32 s83, s83, 0                                  // 00000000405C: 85538053
	v_mfma_i32_16x16x32_i8 v[84:87], a[46:47], a[14:15], v[84:87]// 000000004060: D3D70054 1D521D2E
	s_add_u32 s24, s58, s24                                    // 000000004068: 8018183A
	s_addc_u32 s25, 0, s25                                     // 00000000406C: 82191980
	v_mfma_i32_16x16x32_i8 v[92:95], a[48:49], a[8:9], v[92:95]// 000000004070: D3D7005C 1D721130
	s_add_u32 s20, s57, s20                                    // 000000004078: 80141439
	s_addc_u32 s21, 0, s21                                     // 00000000407C: 82151580
	v_mfma_i32_16x16x32_i8 v[92:95], a[50:51], a[10:11], v[92:95]// 000000004080: D3D7005C 1D721532
	buffer_load_dwordx4 a[100:103], v44, s[84:87], 0 offen offset:1024// 000000004088: E05C1400 8095642C
	s_add_u32 s84, s83, s84                                    // 000000004090: 80545453
	s_addc_u32 s85, 0, s85                                     // 000000004094: 82555580
	v_mfma_i32_16x16x32_i8 v[92:95], a[52:53], a[12:13], v[92:95]// 000000004098: D3D7005C 1D721934
	v_mfma_i32_16x16x32_i8 v[92:95], a[54:55], a[14:15], v[92:95]// 0000000040A0: D3D7005C 1D721D36
	s_addk_i32 s80, 0x80                                       // 0000000040A8: B7500080
	s_cmp_lt_i32 s80, s81                                      // 0000000040AC: BF045150
	s_cbranch_scc0 label_05D5                                  // 0000000040B0: BF8400A8
	s_waitcnt vmcnt(10) lgkmcnt(0)                             // 0000000040B4: BF8C007A
	v_mfma_i32_16x16x32_i8 v[48:51], a[56:57], a[16:17], v[48:51]// 0000000040B8: D3D70030 1CC22138
	v_mfma_i32_16x16x32_i8 v[48:51], a[58:59], a[18:19], v[48:51]// 0000000040C0: D3D70030 1CC2253A
	buffer_load_dwordx4 a[32:35], v42, s[24:27], 0 offen       // 0000000040C8: E05C1000 8086202A
	v_mfma_i32_16x16x32_i8 v[48:51], a[60:61], a[20:21], v[48:51]// 0000000040D0: D3D70030 1CC2293C
	v_mfma_i32_16x16x32_i8 v[48:51], a[62:63], a[22:23], v[48:51]// 0000000040D8: D3D70030 1CC22D3E
	v_mfma_i32_16x16x32_i8 v[56:59], a[64:65], a[16:17], v[56:59]// 0000000040E0: D3D70038 1CE22140
	v_mfma_i32_16x16x32_i8 v[56:59], a[66:67], a[18:19], v[56:59]// 0000000040E8: D3D70038 1CE22542
	buffer_load_dwordx4 a[36:39], v42, s[24:27], 0 offen offset:1024// 0000000040F0: E05C1400 8086242A
	v_mfma_i32_16x16x32_i8 v[56:59], a[68:69], a[20:21], v[56:59]// 0000000040F8: D3D70038 1CE22944
	v_mfma_i32_16x16x32_i8 v[56:59], a[70:71], a[22:23], v[56:59]// 000000004100: D3D70038 1CE22D46
	v_mfma_i32_16x16x32_i8 v[64:67], a[72:73], a[16:17], v[64:67]// 000000004108: D3D70040 1D022148
	v_mfma_i32_16x16x32_i8 v[64:67], a[74:75], a[18:19], v[64:67]// 000000004110: D3D70040 1D02254A
	buffer_load_dwordx4 a[40:43], v43, s[24:27], 0 offen       // 000000004118: E05C1000 8086282B
	v_mfma_i32_16x16x32_i8 v[64:67], a[76:77], a[20:21], v[64:67]// 000000004120: D3D70040 1D02294C
	v_mfma_i32_16x16x32_i8 v[64:67], a[78:79], a[22:23], v[64:67]// 000000004128: D3D70040 1D022D4E
	v_mfma_i32_16x16x32_i8 v[52:55], a[56:57], a[24:25], v[52:55]// 000000004130: D3D70034 1CD23138
	v_mfma_i32_16x16x32_i8 v[52:55], a[58:59], a[26:27], v[52:55]// 000000004138: D3D70034 1CD2353A
	buffer_load_dwordx4 a[44:47], v43, s[24:27], 0 offen offset:1024// 000000004140: E05C1400 80862C2B
	v_mfma_i32_16x16x32_i8 v[52:55], a[60:61], a[28:29], v[52:55]// 000000004148: D3D70034 1CD2393C
	v_mfma_i32_16x16x32_i8 v[52:55], a[62:63], a[30:31], v[52:55]// 000000004150: D3D70034 1CD23D3E
	v_mfma_i32_16x16x32_i8 v[60:63], a[64:65], a[24:25], v[60:63]// 000000004158: D3D7003C 1CF23140
	v_mfma_i32_16x16x32_i8 v[60:63], a[66:67], a[26:27], v[60:63]// 000000004160: D3D7003C 1CF23542
	buffer_load_dwordx4 a[48:51], v44, s[24:27], 0 offen       // 000000004168: E05C1000 8086302C
	v_mfma_i32_16x16x32_i8 v[60:63], a[68:69], a[28:29], v[60:63]// 000000004170: D3D7003C 1CF23944
	v_mfma_i32_16x16x32_i8 v[60:63], a[70:71], a[30:31], v[60:63]// 000000004178: D3D7003C 1CF23D46
	v_mfma_i32_16x16x32_i8 v[68:71], a[72:73], a[24:25], v[68:71]// 000000004180: D3D70044 1D123148
	v_mfma_i32_16x16x32_i8 v[68:71], a[74:75], a[26:27], v[68:71]// 000000004188: D3D70044 1D12354A
	buffer_load_dwordx4 a[52:55], v44, s[24:27], 0 offen offset:1024// 000000004190: E05C1400 8086342C
	buffer_load_dword v38, s[20:23], 0 offen lds               // 000000004198: E0511000 80050026
	s_add_u32 m0, 0x100, s49                                   // 0000000041A0: 807C31FF 00000100
	v_mfma_i32_16x16x32_i8 v[68:71], a[76:77], a[28:29], v[68:71]// 0000000041A8: D3D70044 1D12394C
	v_mfma_i32_16x16x32_i8 v[68:71], a[78:79], a[30:31], v[68:71]// 0000000041B0: D3D70044 1D123D4E
	buffer_load_dword v39, s[20:23], 0 offen lds               // 0000000041B8: E0511000 80050027
	s_add_u32 m0, 0x200, s49                                   // 0000000041C0: 807C31FF 00000200
	buffer_load_dword v40, s[20:23], 0 offen lds               // 0000000041C8: E0511000 80050028
	s_add_u32 m0, 0x300, s49                                   // 0000000041D0: 807C31FF 00000300
	buffer_load_dword v41, s[20:23], 0 offen lds               // 0000000041D8: E0511000 80050029
	s_add_u32 m0, 0, s50                                       // 0000000041E0: 807C3280
	s_waitcnt vmcnt(10)                                        // 0000000041E4: BF8C0F7A
	s_barrier                                                  // 0000000041E8: BF8A0000
	v_mfma_i32_16x16x32_i8 v[72:75], a[80:81], a[16:17], v[72:75]// 0000000041EC: D3D70048 1D222150
	v_mfma_i32_16x16x32_i8 v[72:75], a[82:83], a[18:19], v[72:75]// 0000000041F4: D3D70048 1D222552
	buffer_load_dwordx4 a[56:59], v42, s[84:87], 0 offen       // 0000000041FC: E05C1000 8095382A
	v_mfma_i32_16x16x32_i8 v[72:75], a[84:85], a[20:21], v[72:75]// 000000004204: D3D70048 1D222954
	v_mfma_i32_16x16x32_i8 v[72:75], a[86:87], a[22:23], v[72:75]// 00000000420C: D3D70048 1D222D56
	ds_read_b128 a[0:3], v2                                    // 000000004214: DBFE0000 00000002
	ds_read_b128 a[4:7], v2 offset:64                          // 00000000421C: DBFE0040 04000002
	v_mfma_i32_16x16x32_i8 v[80:83], a[88:89], a[16:17], v[80:83]// 000000004224: D3D70050 1D422158
	v_mfma_i32_16x16x32_i8 v[80:83], a[90:91], a[18:19], v[80:83]// 00000000422C: D3D70050 1D42255A
	buffer_load_dwordx4 a[60:63], v42, s[84:87], 0 offen offset:1024// 000000004234: E05C1400 80953C2A
	v_mfma_i32_16x16x32_i8 v[80:83], a[92:93], a[20:21], v[80:83]// 00000000423C: D3D70050 1D42295C
	v_mfma_i32_16x16x32_i8 v[80:83], a[94:95], a[22:23], v[80:83]// 000000004244: D3D70050 1D422D5E
	ds_read_b128 a[8:11], v2 offset:512                        // 00000000424C: DBFE0200 08000002
	ds_read_b128 a[12:15], v2 offset:576                       // 000000004254: DBFE0240 0C000002
	v_mfma_i32_16x16x32_i8 v[88:91], a[96:97], a[16:17], v[88:91]// 00000000425C: D3D70058 1D622160
	v_mfma_i32_16x16x32_i8 v[88:91], a[98:99], a[18:19], v[88:91]// 000000004264: D3D70058 1D622562
	buffer_load_dwordx4 a[64:67], v43, s[84:87], 0 offen       // 00000000426C: E05C1000 8095402B
	v_mfma_i32_16x16x32_i8 v[88:91], a[100:101], a[20:21], v[88:91]// 000000004274: D3D70058 1D622964
	v_mfma_i32_16x16x32_i8 v[88:91], a[102:103], a[22:23], v[88:91]// 00000000427C: D3D70058 1D622D66
	v_mfma_i32_16x16x32_i8 v[76:79], a[80:81], a[24:25], v[76:79]// 000000004284: D3D7004C 1D323150
	v_mfma_i32_16x16x32_i8 v[76:79], a[82:83], a[26:27], v[76:79]// 00000000428C: D3D7004C 1D323552
	buffer_load_dwordx4 a[68:71], v43, s[84:87], 0 offen offset:1024// 000000004294: E05C1400 8095442B
	v_mfma_i32_16x16x32_i8 v[76:79], a[84:85], a[28:29], v[76:79]// 00000000429C: D3D7004C 1D323954
	v_mfma_i32_16x16x32_i8 v[76:79], a[86:87], a[30:31], v[76:79]// 0000000042A4: D3D7004C 1D323D56
	v_mfma_i32_16x16x32_i8 v[84:87], a[88:89], a[24:25], v[84:87]// 0000000042AC: D3D70054 1D523158
	s_add_u32 s60, 0x180, s80                                  // 0000000042B4: 803C50FF 00000180
	s_cmp_lt_u32 s60, s81                                      // 0000000042BC: BF0A513C
	s_cselect_b32 s57, s57, 0                                  // 0000000042C0: 85398039
	v_mfma_i32_16x16x32_i8 v[84:87], a[90:91], a[26:27], v[84:87]// 0000000042C4: D3D70054 1D52355A
	buffer_load_dwordx4 a[72:75], v44, s[84:87], 0 offen       // 0000000042CC: E05C1000 8095482C
	s_add_u32 s60, 0x100, s80                                  // 0000000042D4: 803C50FF 00000100
	s_cmp_lt_u32 s60, s81                                      // 0000000042DC: BF0A513C
	s_cselect_b32 s58, s58, 0                                  // 0000000042E0: 853A803A
	v_mfma_i32_16x16x32_i8 v[84:87], a[92:93], a[28:29], v[84:87]// 0000000042E4: D3D70054 1D52395C
	s_add_u32 s60, 0x100, s80                                  // 0000000042EC: 803C50FF 00000100
	s_cmp_lt_u32 s60, s81                                      // 0000000042F4: BF0A513C
	s_cselect_b32 s83, s83, 0                                  // 0000000042F8: 85538053
	v_mfma_i32_16x16x32_i8 v[84:87], a[94:95], a[30:31], v[84:87]// 0000000042FC: D3D70054 1D523D5E
	s_add_u32 s24, s58, s24                                    // 000000004304: 8018183A
	s_addc_u32 s25, 0, s25                                     // 000000004308: 82191980
	v_mfma_i32_16x16x32_i8 v[92:95], a[96:97], a[24:25], v[92:95]// 00000000430C: D3D7005C 1D723160
	s_add_u32 s20, s57, s20                                    // 000000004314: 80141439
	s_addc_u32 s21, 0, s21                                     // 000000004318: 82151580
	v_mfma_i32_16x16x32_i8 v[92:95], a[98:99], a[26:27], v[92:95]// 00000000431C: D3D7005C 1D723562
	buffer_load_dwordx4 a[76:79], v44, s[84:87], 0 offen offset:1024// 000000004324: E05C1400 80954C2C
	s_add_u32 s84, s83, s84                                    // 00000000432C: 80545453
	s_addc_u32 s85, 0, s85                                     // 000000004330: 82555580
	v_mfma_i32_16x16x32_i8 v[92:95], a[100:101], a[28:29], v[92:95]// 000000004334: D3D7005C 1D723964
	v_mfma_i32_16x16x32_i8 v[92:95], a[102:103], a[30:31], v[92:95]// 00000000433C: D3D7005C 1D723D66
	s_addk_i32 s80, 0x80                                       // 000000004344: B7500080
	s_cmp_lt_i32 s80, s81                                      // 000000004348: BF045150
	s_cbranch_scc0 label_05D5                                  // 00000000434C: BF840001
	s_branch label_01EA                                        // 000000004350: BF82FC15

0000000000004354 <label_05D5>:
	v_cvt_f32_i32_e32 v48, v48                                 // 000000004354: 7E600B30
	v_cvt_f32_i32_e32 v49, v49                                 // 000000004358: 7E620B31
	v_cvt_f32_i32_e32 v50, v50                                 // 00000000435C: 7E640B32
	v_cvt_f32_i32_e32 v51, v51                                 // 000000004360: 7E660B33
	v_mul_f32_dpp v48, v24, v48 row_newbcast:0 row_mask:0xf bank_mask:0xf// 000000004364: 0A6060FA FF015018
	v_mul_f32_dpp v49, v24, v49 row_newbcast:1 row_mask:0xf bank_mask:0xf// 00000000436C: 0A6262FA FF015118
	v_mul_f32_dpp v50, v24, v50 row_newbcast:2 row_mask:0xf bank_mask:0xf// 000000004374: 0A6464FA FF015218
	v_mul_f32_dpp v51, v24, v51 row_newbcast:3 row_mask:0xf bank_mask:0xf// 00000000437C: 0A6666FA FF015318
	v_cvt_f32_i32_e32 v52, v52                                 // 000000004384: 7E680B34
	v_cvt_f32_i32_e32 v53, v53                                 // 000000004388: 7E6A0B35
	v_cvt_f32_i32_e32 v54, v54                                 // 00000000438C: 7E6C0B36
	v_cvt_f32_i32_e32 v55, v55                                 // 000000004390: 7E6E0B37
	v_mul_f32_dpp v52, v24, v52 row_newbcast:0 row_mask:0xf bank_mask:0xf// 000000004394: 0A6868FA FF015018
	v_mul_f32_dpp v53, v24, v53 row_newbcast:1 row_mask:0xf bank_mask:0xf// 00000000439C: 0A6A6AFA FF015118
	v_mul_f32_dpp v54, v24, v54 row_newbcast:2 row_mask:0xf bank_mask:0xf// 0000000043A4: 0A6C6CFA FF015218
	v_mul_f32_dpp v55, v24, v55 row_newbcast:3 row_mask:0xf bank_mask:0xf// 0000000043AC: 0A6E6EFA FF015318
	v_cvt_f32_i32_e32 v56, v56                                 // 0000000043B4: 7E700B38
	v_cvt_f32_i32_e32 v57, v57                                 // 0000000043B8: 7E720B39
	v_cvt_f32_i32_e32 v58, v58                                 // 0000000043BC: 7E740B3A
	v_cvt_f32_i32_e32 v59, v59                                 // 0000000043C0: 7E760B3B
	v_mul_f32_dpp v56, v24, v56 row_newbcast:4 row_mask:0xf bank_mask:0xf// 0000000043C4: 0A7070FA FF015418
	v_mul_f32_dpp v57, v24, v57 row_newbcast:5 row_mask:0xf bank_mask:0xf// 0000000043CC: 0A7272FA FF015518
	v_mul_f32_dpp v58, v24, v58 row_newbcast:6 row_mask:0xf bank_mask:0xf// 0000000043D4: 0A7474FA FF015618
	v_mul_f32_dpp v59, v24, v59 row_newbcast:7 row_mask:0xf bank_mask:0xf// 0000000043DC: 0A7676FA FF015718
	v_cvt_f32_i32_e32 v60, v60                                 // 0000000043E4: 7E780B3C
	v_cvt_f32_i32_e32 v61, v61                                 // 0000000043E8: 7E7A0B3D
	v_cvt_f32_i32_e32 v62, v62                                 // 0000000043EC: 7E7C0B3E
	v_cvt_f32_i32_e32 v63, v63                                 // 0000000043F0: 7E7E0B3F
	v_mul_f32_dpp v60, v24, v60 row_newbcast:4 row_mask:0xf bank_mask:0xf// 0000000043F4: 0A7878FA FF015418
	v_mul_f32_dpp v61, v24, v61 row_newbcast:5 row_mask:0xf bank_mask:0xf// 0000000043FC: 0A7A7AFA FF015518
	v_mul_f32_dpp v62, v24, v62 row_newbcast:6 row_mask:0xf bank_mask:0xf// 000000004404: 0A7C7CFA FF015618
	v_mul_f32_dpp v63, v24, v63 row_newbcast:7 row_mask:0xf bank_mask:0xf// 00000000440C: 0A7E7EFA FF015718
	v_cvt_f32_i32_e32 v64, v64                                 // 000000004414: 7E800B40
	v_cvt_f32_i32_e32 v65, v65                                 // 000000004418: 7E820B41
	v_cvt_f32_i32_e32 v66, v66                                 // 00000000441C: 7E840B42
	v_cvt_f32_i32_e32 v67, v67                                 // 000000004420: 7E860B43
	v_mul_f32_dpp v64, v24, v64 row_newbcast:8 row_mask:0xf bank_mask:0xf// 000000004424: 0A8080FA FF015818
	v_mul_f32_dpp v65, v24, v65 row_newbcast:9 row_mask:0xf bank_mask:0xf// 00000000442C: 0A8282FA FF015918
	v_mul_f32_dpp v66, v24, v66 row_newbcast:10 row_mask:0xf bank_mask:0xf// 000000004434: 0A8484FA FF015A18
	v_mul_f32_dpp v67, v24, v67 row_newbcast:11 row_mask:0xf bank_mask:0xf// 00000000443C: 0A8686FA FF015B18
	v_cvt_f32_i32_e32 v68, v68                                 // 000000004444: 7E880B44
	v_cvt_f32_i32_e32 v69, v69                                 // 000000004448: 7E8A0B45
	v_cvt_f32_i32_e32 v70, v70                                 // 00000000444C: 7E8C0B46
	v_cvt_f32_i32_e32 v71, v71                                 // 000000004450: 7E8E0B47
	v_mul_f32_dpp v68, v24, v68 row_newbcast:8 row_mask:0xf bank_mask:0xf// 000000004454: 0A8888FA FF015818
	v_mul_f32_dpp v69, v24, v69 row_newbcast:9 row_mask:0xf bank_mask:0xf// 00000000445C: 0A8A8AFA FF015918
	v_mul_f32_dpp v70, v24, v70 row_newbcast:10 row_mask:0xf bank_mask:0xf// 000000004464: 0A8C8CFA FF015A18
	v_mul_f32_dpp v71, v24, v71 row_newbcast:11 row_mask:0xf bank_mask:0xf// 00000000446C: 0A8E8EFA FF015B18
	v_cvt_f32_i32_e32 v72, v72                                 // 000000004474: 7E900B48
	v_cvt_f32_i32_e32 v73, v73                                 // 000000004478: 7E920B49
	v_cvt_f32_i32_e32 v74, v74                                 // 00000000447C: 7E940B4A
	v_cvt_f32_i32_e32 v75, v75                                 // 000000004480: 7E960B4B
	v_mul_f32_dpp v72, v27, v72 row_newbcast:0 row_mask:0xf bank_mask:0xf// 000000004484: 0A9090FA FF01501B
	v_mul_f32_dpp v73, v27, v73 row_newbcast:1 row_mask:0xf bank_mask:0xf// 00000000448C: 0A9292FA FF01511B
	v_mul_f32_dpp v74, v27, v74 row_newbcast:2 row_mask:0xf bank_mask:0xf// 000000004494: 0A9494FA FF01521B
	v_mul_f32_dpp v75, v27, v75 row_newbcast:3 row_mask:0xf bank_mask:0xf// 00000000449C: 0A9696FA FF01531B
	v_cvt_f32_i32_e32 v76, v76                                 // 0000000044A4: 7E980B4C
	v_cvt_f32_i32_e32 v77, v77                                 // 0000000044A8: 7E9A0B4D
	v_cvt_f32_i32_e32 v78, v78                                 // 0000000044AC: 7E9C0B4E
	v_cvt_f32_i32_e32 v79, v79                                 // 0000000044B0: 7E9E0B4F
	v_mul_f32_dpp v76, v27, v76 row_newbcast:0 row_mask:0xf bank_mask:0xf// 0000000044B4: 0A9898FA FF01501B
	v_mul_f32_dpp v77, v27, v77 row_newbcast:1 row_mask:0xf bank_mask:0xf// 0000000044BC: 0A9A9AFA FF01511B
	v_mul_f32_dpp v78, v27, v78 row_newbcast:2 row_mask:0xf bank_mask:0xf// 0000000044C4: 0A9C9CFA FF01521B
	v_mul_f32_dpp v79, v27, v79 row_newbcast:3 row_mask:0xf bank_mask:0xf// 0000000044CC: 0A9E9EFA FF01531B
	v_cvt_f32_i32_e32 v80, v80                                 // 0000000044D4: 7EA00B50
	v_cvt_f32_i32_e32 v81, v81                                 // 0000000044D8: 7EA20B51
	v_cvt_f32_i32_e32 v82, v82                                 // 0000000044DC: 7EA40B52
	v_cvt_f32_i32_e32 v83, v83                                 // 0000000044E0: 7EA60B53
	v_mul_f32_dpp v80, v27, v80 row_newbcast:4 row_mask:0xf bank_mask:0xf// 0000000044E4: 0AA0A0FA FF01541B
	v_mul_f32_dpp v81, v27, v81 row_newbcast:5 row_mask:0xf bank_mask:0xf// 0000000044EC: 0AA2A2FA FF01551B
	v_mul_f32_dpp v82, v27, v82 row_newbcast:6 row_mask:0xf bank_mask:0xf// 0000000044F4: 0AA4A4FA FF01561B
	v_mul_f32_dpp v83, v27, v83 row_newbcast:7 row_mask:0xf bank_mask:0xf// 0000000044FC: 0AA6A6FA FF01571B
	v_cvt_f32_i32_e32 v84, v84                                 // 000000004504: 7EA80B54
	v_cvt_f32_i32_e32 v85, v85                                 // 000000004508: 7EAA0B55
	v_cvt_f32_i32_e32 v86, v86                                 // 00000000450C: 7EAC0B56
	v_cvt_f32_i32_e32 v87, v87                                 // 000000004510: 7EAE0B57
	v_mul_f32_dpp v84, v27, v84 row_newbcast:4 row_mask:0xf bank_mask:0xf// 000000004514: 0AA8A8FA FF01541B
	v_mul_f32_dpp v85, v27, v85 row_newbcast:5 row_mask:0xf bank_mask:0xf// 00000000451C: 0AAAAAFA FF01551B
	v_mul_f32_dpp v86, v27, v86 row_newbcast:6 row_mask:0xf bank_mask:0xf// 000000004524: 0AACACFA FF01561B
	v_mul_f32_dpp v87, v27, v87 row_newbcast:7 row_mask:0xf bank_mask:0xf// 00000000452C: 0AAEAEFA FF01571B
	v_cvt_f32_i32_e32 v88, v88                                 // 000000004534: 7EB00B58
	v_cvt_f32_i32_e32 v89, v89                                 // 000000004538: 7EB20B59
	v_cvt_f32_i32_e32 v90, v90                                 // 00000000453C: 7EB40B5A
	v_cvt_f32_i32_e32 v91, v91                                 // 000000004540: 7EB60B5B
	v_mul_f32_dpp v88, v27, v88 row_newbcast:8 row_mask:0xf bank_mask:0xf// 000000004544: 0AB0B0FA FF01581B
	v_mul_f32_dpp v89, v27, v89 row_newbcast:9 row_mask:0xf bank_mask:0xf// 00000000454C: 0AB2B2FA FF01591B
	v_mul_f32_dpp v90, v27, v90 row_newbcast:10 row_mask:0xf bank_mask:0xf// 000000004554: 0AB4B4FA FF015A1B
	v_mul_f32_dpp v91, v27, v91 row_newbcast:11 row_mask:0xf bank_mask:0xf// 00000000455C: 0AB6B6FA FF015B1B
	v_cvt_f32_i32_e32 v92, v92                                 // 000000004564: 7EB80B5C
	v_cvt_f32_i32_e32 v93, v93                                 // 000000004568: 7EBA0B5D
	v_cvt_f32_i32_e32 v94, v94                                 // 00000000456C: 7EBC0B5E
	v_cvt_f32_i32_e32 v95, v95                                 // 000000004570: 7EBE0B5F
	v_mul_f32_dpp v92, v27, v92 row_newbcast:8 row_mask:0xf bank_mask:0xf// 000000004574: 0AB8B8FA FF01581B
	v_mul_f32_dpp v93, v27, v93 row_newbcast:9 row_mask:0xf bank_mask:0xf// 00000000457C: 0ABABAFA FF01591B
	v_mul_f32_dpp v94, v27, v94 row_newbcast:10 row_mask:0xf bank_mask:0xf// 000000004584: 0ABCBCFA FF015A1B
	v_mul_f32_dpp v95, v27, v95 row_newbcast:11 row_mask:0xf bank_mask:0xf// 00000000458C: 0ABEBEFA FF015B1B
	v_mov_b32_e32 v4, v32                                      // 000000004594: 7E080320
	v_mov_b32_e32 v5, v4                                       // 000000004598: 7E0A0304
	v_pk_mul_f32 v[48:49], v[4:5], v[48:49]                    // 00000000459C: D3B14030 18026104
	v_pk_mul_f32 v[72:73], v[4:5], v[72:73]                    // 0000000045A4: D3B14048 18029104
	v_pk_mul_f32 v[50:51], v[4:5], v[50:51]                    // 0000000045AC: D3B14032 18026504
	v_pk_mul_f32 v[74:75], v[4:5], v[74:75]                    // 0000000045B4: D3B1404A 18029504
	v_pk_mul_f32 v[56:57], v[4:5], v[56:57]                    // 0000000045BC: D3B14038 18027104
	v_pk_mul_f32 v[80:81], v[4:5], v[80:81]                    // 0000000045C4: D3B14050 1802A104
	v_pk_mul_f32 v[58:59], v[4:5], v[58:59]                    // 0000000045CC: D3B1403A 18027504
	v_pk_mul_f32 v[82:83], v[4:5], v[82:83]                    // 0000000045D4: D3B14052 1802A504
	v_pk_mul_f32 v[64:65], v[4:5], v[64:65]                    // 0000000045DC: D3B14040 18028104
	v_pk_mul_f32 v[88:89], v[4:5], v[88:89]                    // 0000000045E4: D3B14058 1802B104
	v_pk_mul_f32 v[66:67], v[4:5], v[66:67]                    // 0000000045EC: D3B14042 18028504
	v_pk_mul_f32 v[90:91], v[4:5], v[90:91]                    // 0000000045F4: D3B1405A 1802B504
	v_mov_b32_e32 v4, v33                                      // 0000000045FC: 7E080321
	v_mov_b32_e32 v5, v4                                       // 000000004600: 7E0A0304
	v_pk_mul_f32 v[52:53], v[4:5], v[52:53]                    // 000000004604: D3B14034 18026904
	v_pk_mul_f32 v[76:77], v[4:5], v[76:77]                    // 00000000460C: D3B1404C 18029904
	v_pk_mul_f32 v[54:55], v[4:5], v[54:55]                    // 000000004614: D3B14036 18026D04
	v_pk_mul_f32 v[78:79], v[4:5], v[78:79]                    // 00000000461C: D3B1404E 18029D04
	v_pk_mul_f32 v[60:61], v[4:5], v[60:61]                    // 000000004624: D3B1403C 18027904
	v_pk_mul_f32 v[84:85], v[4:5], v[84:85]                    // 00000000462C: D3B14054 1802A904
	v_pk_mul_f32 v[62:63], v[4:5], v[62:63]                    // 000000004634: D3B1403E 18027D04
	v_pk_mul_f32 v[86:87], v[4:5], v[86:87]                    // 00000000463C: D3B14056 1802AD04
	v_pk_mul_f32 v[68:69], v[4:5], v[68:69]                    // 000000004644: D3B14044 18028904
	v_pk_mul_f32 v[92:93], v[4:5], v[92:93]                    // 00000000464C: D3B1405C 1802B904
	v_pk_mul_f32 v[70:71], v[4:5], v[70:71]                    // 000000004654: D3B14046 18028D04
	v_pk_mul_f32 v[94:95], v[4:5], v[94:95]                    // 00000000465C: D3B1405E 1802BD04
	s_cmp_eq_u32 s88, 0                                        // 000000004664: BF068058
	s_cbranch_scc0 label_09E8                                  // 000000004668: BF84034D
	s_cmp_eq_u32 s89, 0                                        // 00000000466C: BF068059
	s_cbranch_scc1 label_0792                                  // 000000004670: BF8500F5
	v_mov_b32_e32 v8, v1                                       // 000000004674: 7E100301
	v_mov_b32_e32 v9, v1                                       // 000000004678: 7E120301
	s_mov_b32 s60, s6                                          // 00000000467C: BEBC0006
	s_mov_b32 s61, s6                                          // 000000004680: BEBD0006
	v_pk_mul_f32 v[4:5], v[48:49], v[48:49]                    // 000000004684: D3B14004 18026130
	v_pk_mul_f32 v[6:7], v[50:51], v[50:51]                    // 00000000468C: D3B14006 18026532
	v_pk_fma_f32 v[4:5], v[4:5], s[78:79], v[8:9]              // 000000004694: D3B04004 1C209D04
	v_pk_fma_f32 v[6:7], v[6:7], s[78:79], v[8:9]              // 00000000469C: D3B04006 1C209D06
	v_pk_mul_f32 v[4:5], v[4:5], v[48:49]                      // 0000000046A4: D3B14004 18026104
	v_pk_mul_f32 v[6:7], v[6:7], v[50:51]                      // 0000000046AC: D3B14006 18026506
	v_pk_mul_f32 v[4:5], v[4:5], s[60:61]                      // 0000000046B4: D3B14004 18007904
	v_pk_mul_f32 v[6:7], v[6:7], s[60:61]                      // 0000000046BC: D3B14006 18007906
	v_exp_f32_e32 v4, v4                                       // 0000000046C4: 7E084104
	v_exp_f32_e32 v5, v5                                       // 0000000046C8: 7E0A4105
	v_exp_f32_e32 v6, v6                                       // 0000000046CC: 7E0C4106
	v_exp_f32_e32 v7, v7                                       // 0000000046D0: 7E0E4107
	v_add_f32_e64 v4, v4, 1.0                                  // 0000000046D4: D1010004 0001E504
	v_add_f32_e64 v5, v5, 1.0                                  // 0000000046DC: D1010005 0001E505
	v_add_f32_e64 v6, v6, 1.0                                  // 0000000046E4: D1010006 0001E506
	v_add_f32_e64 v7, v7, 1.0                                  // 0000000046EC: D1010007 0001E507
	v_rcp_f32_e32 v4, v4                                       // 0000000046F4: 7E084504
	v_rcp_f32_e32 v5, v5                                       // 0000000046F8: 7E0A4505
	v_rcp_f32_e32 v6, v6                                       // 0000000046FC: 7E0C4506
	v_rcp_f32_e32 v7, v7                                       // 000000004700: 7E0E4507
	v_mul_f32_e32 v48, v48, v4                                 // 000000004704: 0A600930
	v_mul_f32_e32 v49, v49, v5                                 // 000000004708: 0A620B31
	v_mul_f32_e32 v50, v50, v6                                 // 00000000470C: 0A640D32
	v_mul_f32_e32 v51, v51, v7                                 // 000000004710: 0A660F33
	v_mul_f32_e32 v48, v48, v72                                // 000000004714: 0A609130
	v_mul_f32_e32 v49, v49, v73                                // 000000004718: 0A629331
	v_mul_f32_e32 v50, v50, v74                                // 00000000471C: 0A649532
	v_mul_f32_e32 v51, v51, v75                                // 000000004720: 0A669733
	v_pk_mul_f32 v[4:5], v[52:53], v[52:53]                    // 000000004724: D3B14004 18026934
	v_pk_mul_f32 v[6:7], v[54:55], v[54:55]                    // 00000000472C: D3B14006 18026D36
	v_pk_fma_f32 v[4:5], v[4:5], s[78:79], v[8:9]              // 000000004734: D3B04004 1C209D04
	v_pk_fma_f32 v[6:7], v[6:7], s[78:79], v[8:9]              // 00000000473C: D3B04006 1C209D06
	v_pk_mul_f32 v[4:5], v[4:5], v[52:53]                      // 000000004744: D3B14004 18026904
	v_pk_mul_f32 v[6:7], v[6:7], v[54:55]                      // 00000000474C: D3B14006 18026D06
	v_pk_mul_f32 v[4:5], v[4:5], s[60:61]                      // 000000004754: D3B14004 18007904
	v_pk_mul_f32 v[6:7], v[6:7], s[60:61]                      // 00000000475C: D3B14006 18007906
	v_exp_f32_e32 v4, v4                                       // 000000004764: 7E084104
	v_exp_f32_e32 v5, v5                                       // 000000004768: 7E0A4105
	v_exp_f32_e32 v6, v6                                       // 00000000476C: 7E0C4106
	v_exp_f32_e32 v7, v7                                       // 000000004770: 7E0E4107
	v_add_f32_e64 v4, v4, 1.0                                  // 000000004774: D1010004 0001E504
	v_add_f32_e64 v5, v5, 1.0                                  // 00000000477C: D1010005 0001E505
	v_add_f32_e64 v6, v6, 1.0                                  // 000000004784: D1010006 0001E506
	v_add_f32_e64 v7, v7, 1.0                                  // 00000000478C: D1010007 0001E507
	v_rcp_f32_e32 v4, v4                                       // 000000004794: 7E084504
	v_rcp_f32_e32 v5, v5                                       // 000000004798: 7E0A4505
	v_rcp_f32_e32 v6, v6                                       // 00000000479C: 7E0C4506
	v_rcp_f32_e32 v7, v7                                       // 0000000047A0: 7E0E4507
	v_mul_f32_e32 v52, v52, v4                                 // 0000000047A4: 0A680934
	v_mul_f32_e32 v53, v53, v5                                 // 0000000047A8: 0A6A0B35
	v_mul_f32_e32 v54, v54, v6                                 // 0000000047AC: 0A6C0D36
	v_mul_f32_e32 v55, v55, v7                                 // 0000000047B0: 0A6E0F37
	v_mul_f32_e32 v52, v52, v76                                // 0000000047B4: 0A689934
	v_mul_f32_e32 v53, v53, v77                                // 0000000047B8: 0A6A9B35
	v_mul_f32_e32 v54, v54, v78                                // 0000000047BC: 0A6C9D36
	v_mul_f32_e32 v55, v55, v79                                // 0000000047C0: 0A6E9F37
	v_pk_mul_f32 v[4:5], v[56:57], v[56:57]                    // 0000000047C4: D3B14004 18027138
	v_pk_mul_f32 v[6:7], v[58:59], v[58:59]                    // 0000000047CC: D3B14006 1802753A
	v_pk_fma_f32 v[4:5], v[4:5], s[78:79], v[8:9]              // 0000000047D4: D3B04004 1C209D04
	v_pk_fma_f32 v[6:7], v[6:7], s[78:79], v[8:9]              // 0000000047DC: D3B04006 1C209D06
	v_pk_mul_f32 v[4:5], v[4:5], v[56:57]                      // 0000000047E4: D3B14004 18027104
	v_pk_mul_f32 v[6:7], v[6:7], v[58:59]                      // 0000000047EC: D3B14006 18027506
	v_pk_mul_f32 v[4:5], v[4:5], s[60:61]                      // 0000000047F4: D3B14004 18007904
	v_pk_mul_f32 v[6:7], v[6:7], s[60:61]                      // 0000000047FC: D3B14006 18007906
	v_exp_f32_e32 v4, v4                                       // 000000004804: 7E084104
	v_exp_f32_e32 v5, v5                                       // 000000004808: 7E0A4105
	v_exp_f32_e32 v6, v6                                       // 00000000480C: 7E0C4106
	v_exp_f32_e32 v7, v7                                       // 000000004810: 7E0E4107
	v_add_f32_e64 v4, v4, 1.0                                  // 000000004814: D1010004 0001E504
	v_add_f32_e64 v5, v5, 1.0                                  // 00000000481C: D1010005 0001E505
	v_add_f32_e64 v6, v6, 1.0                                  // 000000004824: D1010006 0001E506
	v_add_f32_e64 v7, v7, 1.0                                  // 00000000482C: D1010007 0001E507
	v_rcp_f32_e32 v4, v4                                       // 000000004834: 7E084504
	v_rcp_f32_e32 v5, v5                                       // 000000004838: 7E0A4505
	v_rcp_f32_e32 v6, v6                                       // 00000000483C: 7E0C4506
	v_rcp_f32_e32 v7, v7                                       // 000000004840: 7E0E4507
	v_mul_f32_e32 v56, v56, v4                                 // 000000004844: 0A700938
	v_mul_f32_e32 v57, v57, v5                                 // 000000004848: 0A720B39
	v_mul_f32_e32 v58, v58, v6                                 // 00000000484C: 0A740D3A
	v_mul_f32_e32 v59, v59, v7                                 // 000000004850: 0A760F3B
	v_mul_f32_e32 v56, v56, v80                                // 000000004854: 0A70A138
	v_mul_f32_e32 v57, v57, v81                                // 000000004858: 0A72A339
	v_mul_f32_e32 v58, v58, v82                                // 00000000485C: 0A74A53A
	v_mul_f32_e32 v59, v59, v83                                // 000000004860: 0A76A73B
	v_pk_mul_f32 v[4:5], v[60:61], v[60:61]                    // 000000004864: D3B14004 1802793C
	v_pk_mul_f32 v[6:7], v[62:63], v[62:63]                    // 00000000486C: D3B14006 18027D3E
	v_pk_fma_f32 v[4:5], v[4:5], s[78:79], v[8:9]              // 000000004874: D3B04004 1C209D04
	v_pk_fma_f32 v[6:7], v[6:7], s[78:79], v[8:9]              // 00000000487C: D3B04006 1C209D06
	v_pk_mul_f32 v[4:5], v[4:5], v[60:61]                      // 000000004884: D3B14004 18027904
	v_pk_mul_f32 v[6:7], v[6:7], v[62:63]                      // 00000000488C: D3B14006 18027D06
	v_pk_mul_f32 v[4:5], v[4:5], s[60:61]                      // 000000004894: D3B14004 18007904
	v_pk_mul_f32 v[6:7], v[6:7], s[60:61]                      // 00000000489C: D3B14006 18007906
	v_exp_f32_e32 v4, v4                                       // 0000000048A4: 7E084104
	v_exp_f32_e32 v5, v5                                       // 0000000048A8: 7E0A4105
	v_exp_f32_e32 v6, v6                                       // 0000000048AC: 7E0C4106
	v_exp_f32_e32 v7, v7                                       // 0000000048B0: 7E0E4107
	v_add_f32_e64 v4, v4, 1.0                                  // 0000000048B4: D1010004 0001E504
	v_add_f32_e64 v5, v5, 1.0                                  // 0000000048BC: D1010005 0001E505
	v_add_f32_e64 v6, v6, 1.0                                  // 0000000048C4: D1010006 0001E506
	v_add_f32_e64 v7, v7, 1.0                                  // 0000000048CC: D1010007 0001E507
	v_rcp_f32_e32 v4, v4                                       // 0000000048D4: 7E084504
	v_rcp_f32_e32 v5, v5                                       // 0000000048D8: 7E0A4505
	v_rcp_f32_e32 v6, v6                                       // 0000000048DC: 7E0C4506
	v_rcp_f32_e32 v7, v7                                       // 0000000048E0: 7E0E4507
	v_mul_f32_e32 v60, v60, v4                                 // 0000000048E4: 0A78093C
	v_mul_f32_e32 v61, v61, v5                                 // 0000000048E8: 0A7A0B3D
	v_mul_f32_e32 v62, v62, v6                                 // 0000000048EC: 0A7C0D3E
	v_mul_f32_e32 v63, v63, v7                                 // 0000000048F0: 0A7E0F3F
	v_mul_f32_e32 v60, v60, v84                                // 0000000048F4: 0A78A93C
	v_mul_f32_e32 v61, v61, v85                                // 0000000048F8: 0A7AAB3D
	v_mul_f32_e32 v62, v62, v86                                // 0000000048FC: 0A7CAD3E
	v_mul_f32_e32 v63, v63, v87                                // 000000004900: 0A7EAF3F
	v_pk_mul_f32 v[4:5], v[64:65], v[64:65]                    // 000000004904: D3B14004 18028140
	v_pk_mul_f32 v[6:7], v[66:67], v[66:67]                    // 00000000490C: D3B14006 18028542
	v_pk_fma_f32 v[4:5], v[4:5], s[78:79], v[8:9]              // 000000004914: D3B04004 1C209D04
	v_pk_fma_f32 v[6:7], v[6:7], s[78:79], v[8:9]              // 00000000491C: D3B04006 1C209D06
	v_pk_mul_f32 v[4:5], v[4:5], v[64:65]                      // 000000004924: D3B14004 18028104
	v_pk_mul_f32 v[6:7], v[6:7], v[66:67]                      // 00000000492C: D3B14006 18028506
	v_pk_mul_f32 v[4:5], v[4:5], s[60:61]                      // 000000004934: D3B14004 18007904
	v_pk_mul_f32 v[6:7], v[6:7], s[60:61]                      // 00000000493C: D3B14006 18007906
	v_exp_f32_e32 v4, v4                                       // 000000004944: 7E084104
	v_exp_f32_e32 v5, v5                                       // 000000004948: 7E0A4105
	v_exp_f32_e32 v6, v6                                       // 00000000494C: 7E0C4106
	v_exp_f32_e32 v7, v7                                       // 000000004950: 7E0E4107
	v_add_f32_e64 v4, v4, 1.0                                  // 000000004954: D1010004 0001E504
	v_add_f32_e64 v5, v5, 1.0                                  // 00000000495C: D1010005 0001E505
	v_add_f32_e64 v6, v6, 1.0                                  // 000000004964: D1010006 0001E506
	v_add_f32_e64 v7, v7, 1.0                                  // 00000000496C: D1010007 0001E507
	v_rcp_f32_e32 v4, v4                                       // 000000004974: 7E084504
	v_rcp_f32_e32 v5, v5                                       // 000000004978: 7E0A4505
	v_rcp_f32_e32 v6, v6                                       // 00000000497C: 7E0C4506
	v_rcp_f32_e32 v7, v7                                       // 000000004980: 7E0E4507
	v_mul_f32_e32 v64, v64, v4                                 // 000000004984: 0A800940
	v_mul_f32_e32 v65, v65, v5                                 // 000000004988: 0A820B41
	v_mul_f32_e32 v66, v66, v6                                 // 00000000498C: 0A840D42
	v_mul_f32_e32 v67, v67, v7                                 // 000000004990: 0A860F43
	v_mul_f32_e32 v64, v64, v88                                // 000000004994: 0A80B140
	v_mul_f32_e32 v65, v65, v89                                // 000000004998: 0A82B341
	v_mul_f32_e32 v66, v66, v90                                // 00000000499C: 0A84B542
	v_mul_f32_e32 v67, v67, v91                                // 0000000049A0: 0A86B743
	v_pk_mul_f32 v[4:5], v[68:69], v[68:69]                    // 0000000049A4: D3B14004 18028944
	v_pk_mul_f32 v[6:7], v[70:71], v[70:71]                    // 0000000049AC: D3B14006 18028D46
	v_pk_fma_f32 v[4:5], v[4:5], s[78:79], v[8:9]              // 0000000049B4: D3B04004 1C209D04
	v_pk_fma_f32 v[6:7], v[6:7], s[78:79], v[8:9]              // 0000000049BC: D3B04006 1C209D06
	v_pk_mul_f32 v[4:5], v[4:5], v[68:69]                      // 0000000049C4: D3B14004 18028904
	v_pk_mul_f32 v[6:7], v[6:7], v[70:71]                      // 0000000049CC: D3B14006 18028D06
	v_pk_mul_f32 v[4:5], v[4:5], s[60:61]                      // 0000000049D4: D3B14004 18007904
	v_pk_mul_f32 v[6:7], v[6:7], s[60:61]                      // 0000000049DC: D3B14006 18007906
	v_exp_f32_e32 v4, v4                                       // 0000000049E4: 7E084104
	v_exp_f32_e32 v5, v5                                       // 0000000049E8: 7E0A4105
	v_exp_f32_e32 v6, v6                                       // 0000000049EC: 7E0C4106
	v_exp_f32_e32 v7, v7                                       // 0000000049F0: 7E0E4107
	v_add_f32_e64 v4, v4, 1.0                                  // 0000000049F4: D1010004 0001E504
	v_add_f32_e64 v5, v5, 1.0                                  // 0000000049FC: D1010005 0001E505
	v_add_f32_e64 v6, v6, 1.0                                  // 000000004A04: D1010006 0001E506
	v_add_f32_e64 v7, v7, 1.0                                  // 000000004A0C: D1010007 0001E507
	v_rcp_f32_e32 v4, v4                                       // 000000004A14: 7E084504
	v_rcp_f32_e32 v5, v5                                       // 000000004A18: 7E0A4505
	v_rcp_f32_e32 v6, v6                                       // 000000004A1C: 7E0C4506
	v_rcp_f32_e32 v7, v7                                       // 000000004A20: 7E0E4507
	v_mul_f32_e32 v68, v68, v4                                 // 000000004A24: 0A880944
	v_mul_f32_e32 v69, v69, v5                                 // 000000004A28: 0A8A0B45
	v_mul_f32_e32 v70, v70, v6                                 // 000000004A2C: 0A8C0D46
	v_mul_f32_e32 v71, v71, v7                                 // 000000004A30: 0A8E0F47
	v_mul_f32_e32 v68, v68, v92                                // 000000004A34: 0A88B944
	v_mul_f32_e32 v69, v69, v93                                // 000000004A38: 0A8ABB45
	v_mul_f32_e32 v70, v70, v94                                // 000000004A3C: 0A8CBD46
	v_mul_f32_e32 v71, v71, v95                                // 000000004A40: 0A8EBF47
	s_branch label_0852                                        // 000000004A44: BF8200C0

0000000000004a48 <label_0792>:
	v_mul_f32_e64 v4, -v48, s6                                 // 000000004A48: D1050004 20000D30
	v_mul_f32_e64 v5, -v49, s6                                 // 000000004A50: D1050005 20000D31
	v_mul_f32_e64 v6, -v50, s6                                 // 000000004A58: D1050006 20000D32
	v_mul_f32_e64 v7, -v51, s6                                 // 000000004A60: D1050007 20000D33
	v_exp_f32_e32 v4, v4                                       // 000000004A68: 7E084104
	v_exp_f32_e32 v5, v5                                       // 000000004A6C: 7E0A4105
	v_exp_f32_e32 v6, v6                                       // 000000004A70: 7E0C4106
	v_exp_f32_e32 v7, v7                                       // 000000004A74: 7E0E4107
	v_add_f32_e64 v4, v4, 1.0                                  // 000000004A78: D1010004 0001E504
	v_add_f32_e64 v5, v5, 1.0                                  // 000000004A80: D1010005 0001E505
	v_add_f32_e64 v6, v6, 1.0                                  // 000000004A88: D1010006 0001E506
	v_add_f32_e64 v7, v7, 1.0                                  // 000000004A90: D1010007 0001E507
	v_rcp_f32_e32 v4, v4                                       // 000000004A98: 7E084504
	v_rcp_f32_e32 v5, v5                                       // 000000004A9C: 7E0A4505
	v_rcp_f32_e32 v6, v6                                       // 000000004AA0: 7E0C4506
	v_rcp_f32_e32 v7, v7                                       // 000000004AA4: 7E0E4507
	v_mul_f32_e32 v48, v48, v4                                 // 000000004AA8: 0A600930
	v_mul_f32_e32 v49, v49, v5                                 // 000000004AAC: 0A620B31
	v_mul_f32_e32 v50, v50, v6                                 // 000000004AB0: 0A640D32
	v_mul_f32_e32 v51, v51, v7                                 // 000000004AB4: 0A660F33
	v_mul_f32_e32 v48, v48, v72                                // 000000004AB8: 0A609130
	v_mul_f32_e32 v49, v49, v73                                // 000000004ABC: 0A629331
	v_mul_f32_e32 v50, v50, v74                                // 000000004AC0: 0A649532
	v_mul_f32_e32 v51, v51, v75                                // 000000004AC4: 0A669733
	v_mul_f32_e64 v4, -v52, s6                                 // 000000004AC8: D1050004 20000D34
	v_mul_f32_e64 v5, -v53, s6                                 // 000000004AD0: D1050005 20000D35
	v_mul_f32_e64 v6, -v54, s6                                 // 000000004AD8: D1050006 20000D36
	v_mul_f32_e64 v7, -v55, s6                                 // 000000004AE0: D1050007 20000D37
	v_exp_f32_e32 v4, v4                                       // 000000004AE8: 7E084104
	v_exp_f32_e32 v5, v5                                       // 000000004AEC: 7E0A4105
	v_exp_f32_e32 v6, v6                                       // 000000004AF0: 7E0C4106
	v_exp_f32_e32 v7, v7                                       // 000000004AF4: 7E0E4107
	v_add_f32_e64 v4, v4, 1.0                                  // 000000004AF8: D1010004 0001E504
	v_add_f32_e64 v5, v5, 1.0                                  // 000000004B00: D1010005 0001E505
	v_add_f32_e64 v6, v6, 1.0                                  // 000000004B08: D1010006 0001E506
	v_add_f32_e64 v7, v7, 1.0                                  // 000000004B10: D1010007 0001E507
	v_rcp_f32_e32 v4, v4                                       // 000000004B18: 7E084504
	v_rcp_f32_e32 v5, v5                                       // 000000004B1C: 7E0A4505
	v_rcp_f32_e32 v6, v6                                       // 000000004B20: 7E0C4506
	v_rcp_f32_e32 v7, v7                                       // 000000004B24: 7E0E4507
	v_mul_f32_e32 v52, v52, v4                                 // 000000004B28: 0A680934
	v_mul_f32_e32 v53, v53, v5                                 // 000000004B2C: 0A6A0B35
	v_mul_f32_e32 v54, v54, v6                                 // 000000004B30: 0A6C0D36
	v_mul_f32_e32 v55, v55, v7                                 // 000000004B34: 0A6E0F37
	v_mul_f32_e32 v52, v52, v76                                // 000000004B38: 0A689934
	v_mul_f32_e32 v53, v53, v77                                // 000000004B3C: 0A6A9B35
	v_mul_f32_e32 v54, v54, v78                                // 000000004B40: 0A6C9D36
	v_mul_f32_e32 v55, v55, v79                                // 000000004B44: 0A6E9F37
	v_mul_f32_e64 v4, -v56, s6                                 // 000000004B48: D1050004 20000D38
	v_mul_f32_e64 v5, -v57, s6                                 // 000000004B50: D1050005 20000D39
	v_mul_f32_e64 v6, -v58, s6                                 // 000000004B58: D1050006 20000D3A
	v_mul_f32_e64 v7, -v59, s6                                 // 000000004B60: D1050007 20000D3B
	v_exp_f32_e32 v4, v4                                       // 000000004B68: 7E084104
	v_exp_f32_e32 v5, v5                                       // 000000004B6C: 7E0A4105
	v_exp_f32_e32 v6, v6                                       // 000000004B70: 7E0C4106
	v_exp_f32_e32 v7, v7                                       // 000000004B74: 7E0E4107
	v_add_f32_e64 v4, v4, 1.0                                  // 000000004B78: D1010004 0001E504
	v_add_f32_e64 v5, v5, 1.0                                  // 000000004B80: D1010005 0001E505
	v_add_f32_e64 v6, v6, 1.0                                  // 000000004B88: D1010006 0001E506
	v_add_f32_e64 v7, v7, 1.0                                  // 000000004B90: D1010007 0001E507
	v_rcp_f32_e32 v4, v4                                       // 000000004B98: 7E084504
	v_rcp_f32_e32 v5, v5                                       // 000000004B9C: 7E0A4505
	v_rcp_f32_e32 v6, v6                                       // 000000004BA0: 7E0C4506
	v_rcp_f32_e32 v7, v7                                       // 000000004BA4: 7E0E4507
	v_mul_f32_e32 v56, v56, v4                                 // 000000004BA8: 0A700938
	v_mul_f32_e32 v57, v57, v5                                 // 000000004BAC: 0A720B39
	v_mul_f32_e32 v58, v58, v6                                 // 000000004BB0: 0A740D3A
	v_mul_f32_e32 v59, v59, v7                                 // 000000004BB4: 0A760F3B
	v_mul_f32_e32 v56, v56, v80                                // 000000004BB8: 0A70A138
	v_mul_f32_e32 v57, v57, v81                                // 000000004BBC: 0A72A339
	v_mul_f32_e32 v58, v58, v82                                // 000000004BC0: 0A74A53A
	v_mul_f32_e32 v59, v59, v83                                // 000000004BC4: 0A76A73B
	v_mul_f32_e64 v4, -v60, s6                                 // 000000004BC8: D1050004 20000D3C
	v_mul_f32_e64 v5, -v61, s6                                 // 000000004BD0: D1050005 20000D3D
	v_mul_f32_e64 v6, -v62, s6                                 // 000000004BD8: D1050006 20000D3E
	v_mul_f32_e64 v7, -v63, s6                                 // 000000004BE0: D1050007 20000D3F
	v_exp_f32_e32 v4, v4                                       // 000000004BE8: 7E084104
	v_exp_f32_e32 v5, v5                                       // 000000004BEC: 7E0A4105
	v_exp_f32_e32 v6, v6                                       // 000000004BF0: 7E0C4106
	v_exp_f32_e32 v7, v7                                       // 000000004BF4: 7E0E4107
	v_add_f32_e64 v4, v4, 1.0                                  // 000000004BF8: D1010004 0001E504
	v_add_f32_e64 v5, v5, 1.0                                  // 000000004C00: D1010005 0001E505
	v_add_f32_e64 v6, v6, 1.0                                  // 000000004C08: D1010006 0001E506
	v_add_f32_e64 v7, v7, 1.0                                  // 000000004C10: D1010007 0001E507
	v_rcp_f32_e32 v4, v4                                       // 000000004C18: 7E084504
	v_rcp_f32_e32 v5, v5                                       // 000000004C1C: 7E0A4505
	v_rcp_f32_e32 v6, v6                                       // 000000004C20: 7E0C4506
	v_rcp_f32_e32 v7, v7                                       // 000000004C24: 7E0E4507
	v_mul_f32_e32 v60, v60, v4                                 // 000000004C28: 0A78093C
	v_mul_f32_e32 v61, v61, v5                                 // 000000004C2C: 0A7A0B3D
	v_mul_f32_e32 v62, v62, v6                                 // 000000004C30: 0A7C0D3E
	v_mul_f32_e32 v63, v63, v7                                 // 000000004C34: 0A7E0F3F
	v_mul_f32_e32 v60, v60, v84                                // 000000004C38: 0A78A93C
	v_mul_f32_e32 v61, v61, v85                                // 000000004C3C: 0A7AAB3D
	v_mul_f32_e32 v62, v62, v86                                // 000000004C40: 0A7CAD3E
	v_mul_f32_e32 v63, v63, v87                                // 000000004C44: 0A7EAF3F
	v_mul_f32_e64 v4, -v64, s6                                 // 000000004C48: D1050004 20000D40
	v_mul_f32_e64 v5, -v65, s6                                 // 000000004C50: D1050005 20000D41
	v_mul_f32_e64 v6, -v66, s6                                 // 000000004C58: D1050006 20000D42
	v_mul_f32_e64 v7, -v67, s6                                 // 000000004C60: D1050007 20000D43
	v_exp_f32_e32 v4, v4                                       // 000000004C68: 7E084104
	v_exp_f32_e32 v5, v5                                       // 000000004C6C: 7E0A4105
	v_exp_f32_e32 v6, v6                                       // 000000004C70: 7E0C4106
	v_exp_f32_e32 v7, v7                                       // 000000004C74: 7E0E4107
	v_add_f32_e64 v4, v4, 1.0                                  // 000000004C78: D1010004 0001E504
	v_add_f32_e64 v5, v5, 1.0                                  // 000000004C80: D1010005 0001E505
	v_add_f32_e64 v6, v6, 1.0                                  // 000000004C88: D1010006 0001E506
	v_add_f32_e64 v7, v7, 1.0                                  // 000000004C90: D1010007 0001E507
	v_rcp_f32_e32 v4, v4                                       // 000000004C98: 7E084504
	v_rcp_f32_e32 v5, v5                                       // 000000004C9C: 7E0A4505
	v_rcp_f32_e32 v6, v6                                       // 000000004CA0: 7E0C4506
	v_rcp_f32_e32 v7, v7                                       // 000000004CA4: 7E0E4507
	v_mul_f32_e32 v64, v64, v4                                 // 000000004CA8: 0A800940
	v_mul_f32_e32 v65, v65, v5                                 // 000000004CAC: 0A820B41
	v_mul_f32_e32 v66, v66, v6                                 // 000000004CB0: 0A840D42
	v_mul_f32_e32 v67, v67, v7                                 // 000000004CB4: 0A860F43
	v_mul_f32_e32 v64, v64, v88                                // 000000004CB8: 0A80B140
	v_mul_f32_e32 v65, v65, v89                                // 000000004CBC: 0A82B341
	v_mul_f32_e32 v66, v66, v90                                // 000000004CC0: 0A84B542
	v_mul_f32_e32 v67, v67, v91                                // 000000004CC4: 0A86B743
	v_mul_f32_e64 v4, -v68, s6                                 // 000000004CC8: D1050004 20000D44
	v_mul_f32_e64 v5, -v69, s6                                 // 000000004CD0: D1050005 20000D45
	v_mul_f32_e64 v6, -v70, s6                                 // 000000004CD8: D1050006 20000D46
	v_mul_f32_e64 v7, -v71, s6                                 // 000000004CE0: D1050007 20000D47
	v_exp_f32_e32 v4, v4                                       // 000000004CE8: 7E084104
	v_exp_f32_e32 v5, v5                                       // 000000004CEC: 7E0A4105
	v_exp_f32_e32 v6, v6                                       // 000000004CF0: 7E0C4106
	v_exp_f32_e32 v7, v7                                       // 000000004CF4: 7E0E4107
	v_add_f32_e64 v4, v4, 1.0                                  // 000000004CF8: D1010004 0001E504
	v_add_f32_e64 v5, v5, 1.0                                  // 000000004D00: D1010005 0001E505
	v_add_f32_e64 v6, v6, 1.0                                  // 000000004D08: D1010006 0001E506
	v_add_f32_e64 v7, v7, 1.0                                  // 000000004D10: D1010007 0001E507
	v_rcp_f32_e32 v4, v4                                       // 000000004D18: 7E084504
	v_rcp_f32_e32 v5, v5                                       // 000000004D1C: 7E0A4505
	v_rcp_f32_e32 v6, v6                                       // 000000004D20: 7E0C4506
	v_rcp_f32_e32 v7, v7                                       // 000000004D24: 7E0E4507
	v_mul_f32_e32 v68, v68, v4                                 // 000000004D28: 0A880944
	v_mul_f32_e32 v69, v69, v5                                 // 000000004D2C: 0A8A0B45
	v_mul_f32_e32 v70, v70, v6                                 // 000000004D30: 0A8C0D46
	v_mul_f32_e32 v71, v71, v7                                 // 000000004D34: 0A8E0F47
	v_mul_f32_e32 v68, v68, v92                                // 000000004D38: 0A88B944
	v_mul_f32_e32 v69, v69, v93                                // 000000004D3C: 0A8ABB45
	v_mul_f32_e32 v70, v70, v94                                // 000000004D40: 0A8CBD46
	v_mul_f32_e32 v71, v71, v95                                // 000000004D44: 0A8EBF47

0000000000004d48 <label_0852>:
	v_cmp_u_f32_e64 s[46:47], v48, v48                         // 000000004D48: D048002E 00026130
	v_add3_u32 v16, v48, v19, 1                                // 000000004D50: D1FF0010 02062730
	v_cndmask_b32_e64 v4, v16, v18, s[46:47]                   // 000000004D58: D1000004 00BA2510
	v_cmp_u_f32_e64 s[46:47], v49, v49                         // 000000004D60: D048002E 00026331
	v_add3_u32 v16, v49, v19, 1                                // 000000004D68: D1FF0010 02062731
	v_cndmask_b32_e64 v5, v16, v18, s[46:47]                   // 000000004D70: D1000005 00BA2510
	v_perm_b32 v48, v5, v4, s52                                // 000000004D78: D1ED0030 00D20905
	v_cmp_u_f32_e64 s[46:47], v50, v50                         // 000000004D80: D048002E 00026532
	v_add3_u32 v16, v50, v19, 1                                // 000000004D88: D1FF0010 02062732
	v_cndmask_b32_e64 v4, v16, v18, s[46:47]                   // 000000004D90: D1000004 00BA2510
	v_cmp_u_f32_e64 s[46:47], v51, v51                         // 000000004D98: D048002E 00026733
	v_add3_u32 v16, v51, v19, 1                                // 000000004DA0: D1FF0010 02062733
	v_cndmask_b32_e64 v5, v16, v18, s[46:47]                   // 000000004DA8: D1000005 00BA2510
	v_perm_b32 v49, v5, v4, s52                                // 000000004DB0: D1ED0031 00D20905
	v_cmp_u_f32_e64 s[46:47], v52, v52                         // 000000004DB8: D048002E 00026934
	v_add3_u32 v16, v52, v19, 1                                // 000000004DC0: D1FF0010 02062734
	v_cndmask_b32_e64 v4, v16, v18, s[46:47]                   // 000000004DC8: D1000004 00BA2510
	v_cmp_u_f32_e64 s[46:47], v53, v53                         // 000000004DD0: D048002E 00026B35
	v_add3_u32 v16, v53, v19, 1                                // 000000004DD8: D1FF0010 02062735
	v_cndmask_b32_e64 v5, v16, v18, s[46:47]                   // 000000004DE0: D1000005 00BA2510
	v_perm_b32 v50, v5, v4, s52                                // 000000004DE8: D1ED0032 00D20905
	v_cmp_u_f32_e64 s[46:47], v54, v54                         // 000000004DF0: D048002E 00026D36
	v_add3_u32 v16, v54, v19, 1                                // 000000004DF8: D1FF0010 02062736
	v_cndmask_b32_e64 v4, v16, v18, s[46:47]                   // 000000004E00: D1000004 00BA2510
	v_cmp_u_f32_e64 s[46:47], v55, v55                         // 000000004E08: D048002E 00026F37
	v_add3_u32 v16, v55, v19, 1                                // 000000004E10: D1FF0010 02062737
	v_cndmask_b32_e64 v5, v16, v18, s[46:47]                   // 000000004E18: D1000005 00BA2510
	v_perm_b32 v51, v5, v4, s52                                // 000000004E20: D1ED0033 00D20905
	v_cmp_u_f32_e64 s[46:47], v56, v56                         // 000000004E28: D048002E 00027138
	v_add3_u32 v16, v56, v19, 1                                // 000000004E30: D1FF0010 02062738
	v_cndmask_b32_e64 v4, v16, v18, s[46:47]                   // 000000004E38: D1000004 00BA2510
	v_cmp_u_f32_e64 s[46:47], v57, v57                         // 000000004E40: D048002E 00027339
	v_add3_u32 v16, v57, v19, 1                                // 000000004E48: D1FF0010 02062739
	v_cndmask_b32_e64 v5, v16, v18, s[46:47]                   // 000000004E50: D1000005 00BA2510
	v_perm_b32 v52, v5, v4, s52                                // 000000004E58: D1ED0034 00D20905
	v_cmp_u_f32_e64 s[46:47], v58, v58                         // 000000004E60: D048002E 0002753A
	v_add3_u32 v16, v58, v19, 1                                // 000000004E68: D1FF0010 0206273A
	v_cndmask_b32_e64 v4, v16, v18, s[46:47]                   // 000000004E70: D1000004 00BA2510
	v_cmp_u_f32_e64 s[46:47], v59, v59                         // 000000004E78: D048002E 0002773B
	v_add3_u32 v16, v59, v19, 1                                // 000000004E80: D1FF0010 0206273B
	v_cndmask_b32_e64 v5, v16, v18, s[46:47]                   // 000000004E88: D1000005 00BA2510
	v_perm_b32 v53, v5, v4, s52                                // 000000004E90: D1ED0035 00D20905
	v_cmp_u_f32_e64 s[46:47], v60, v60                         // 000000004E98: D048002E 0002793C
	v_add3_u32 v16, v60, v19, 1                                // 000000004EA0: D1FF0010 0206273C
	v_cndmask_b32_e64 v4, v16, v18, s[46:47]                   // 000000004EA8: D1000004 00BA2510
	v_cmp_u_f32_e64 s[46:47], v61, v61                         // 000000004EB0: D048002E 00027B3D
	v_add3_u32 v16, v61, v19, 1                                // 000000004EB8: D1FF0010 0206273D
	v_cndmask_b32_e64 v5, v16, v18, s[46:47]                   // 000000004EC0: D1000005 00BA2510
	v_perm_b32 v54, v5, v4, s52                                // 000000004EC8: D1ED0036 00D20905
	v_cmp_u_f32_e64 s[46:47], v62, v62                         // 000000004ED0: D048002E 00027D3E
	v_add3_u32 v16, v62, v19, 1                                // 000000004ED8: D1FF0010 0206273E
	v_cndmask_b32_e64 v4, v16, v18, s[46:47]                   // 000000004EE0: D1000004 00BA2510
	v_cmp_u_f32_e64 s[46:47], v63, v63                         // 000000004EE8: D048002E 00027F3F
	v_add3_u32 v16, v63, v19, 1                                // 000000004EF0: D1FF0010 0206273F
	v_cndmask_b32_e64 v5, v16, v18, s[46:47]                   // 000000004EF8: D1000005 00BA2510
	v_perm_b32 v55, v5, v4, s52                                // 000000004F00: D1ED0037 00D20905
	v_cmp_u_f32_e64 s[46:47], v64, v64                         // 000000004F08: D048002E 00028140
	v_add3_u32 v16, v64, v19, 1                                // 000000004F10: D1FF0010 02062740
	v_cndmask_b32_e64 v4, v16, v18, s[46:47]                   // 000000004F18: D1000004 00BA2510
	v_cmp_u_f32_e64 s[46:47], v65, v65                         // 000000004F20: D048002E 00028341
	v_add3_u32 v16, v65, v19, 1                                // 000000004F28: D1FF0010 02062741
	v_cndmask_b32_e64 v5, v16, v18, s[46:47]                   // 000000004F30: D1000005 00BA2510
	v_perm_b32 v56, v5, v4, s52                                // 000000004F38: D1ED0038 00D20905
	v_cmp_u_f32_e64 s[46:47], v66, v66                         // 000000004F40: D048002E 00028542
	v_add3_u32 v16, v66, v19, 1                                // 000000004F48: D1FF0010 02062742
	v_cndmask_b32_e64 v4, v16, v18, s[46:47]                   // 000000004F50: D1000004 00BA2510
	v_cmp_u_f32_e64 s[46:47], v67, v67                         // 000000004F58: D048002E 00028743
	v_add3_u32 v16, v67, v19, 1                                // 000000004F60: D1FF0010 02062743
	v_cndmask_b32_e64 v5, v16, v18, s[46:47]                   // 000000004F68: D1000005 00BA2510
	v_perm_b32 v57, v5, v4, s52                                // 000000004F70: D1ED0039 00D20905
	v_cmp_u_f32_e64 s[46:47], v68, v68                         // 000000004F78: D048002E 00028944
	v_add3_u32 v16, v68, v19, 1                                // 000000004F80: D1FF0010 02062744
	v_cndmask_b32_e64 v4, v16, v18, s[46:47]                   // 000000004F88: D1000004 00BA2510
	v_cmp_u_f32_e64 s[46:47], v69, v69                         // 000000004F90: D048002E 00028B45
	v_add3_u32 v16, v69, v19, 1                                // 000000004F98: D1FF0010 02062745
	v_cndmask_b32_e64 v5, v16, v18, s[46:47]                   // 000000004FA0: D1000005 00BA2510
	v_perm_b32 v58, v5, v4, s52                                // 000000004FA8: D1ED003A 00D20905
	v_cmp_u_f32_e64 s[46:47], v70, v70                         // 000000004FB0: D048002E 00028D46
	v_add3_u32 v16, v70, v19, 1                                // 000000004FB8: D1FF0010 02062746
	v_cndmask_b32_e64 v4, v16, v18, s[46:47]                   // 000000004FC0: D1000004 00BA2510
	v_cmp_u_f32_e64 s[46:47], v71, v71                         // 000000004FC8: D048002E 00028F47
	v_add3_u32 v16, v71, v19, 1                                // 000000004FD0: D1FF0010 02062747
	v_cndmask_b32_e64 v5, v16, v18, s[46:47]                   // 000000004FD8: D1000005 00BA2510
	v_perm_b32 v59, v5, v4, s52                                // 000000004FE0: D1ED003B 00D20905
	ds_write_b64 v20, v[48:49]                                 // 000000004FE8: D89A0000 00003014
	ds_write_b64 v20, v[50:51] offset:6528                     // 000000004FF0: D89A1980 00003214
	ds_write_b64 v20, v[52:53] offset:2176                     // 000000004FF8: D89A0880 00003414
	ds_write_b64 v20, v[54:55] offset:8704                     // 000000005000: D89A2200 00003614
	ds_write_b64 v20, v[56:57] offset:4352                     // 000000005008: D89A1100 00003814
	ds_write_b64 v20, v[58:59] offset:10880                    // 000000005010: D89A2A80 00003A14
	v_lshrrev_b32_e32 v4, 5, v0                                // 000000005018: 20080085
	v_xor_b32_e32 v5, 1, v4                                    // 00000000501C: 2A0A0881
	s_mul_i32 s60, s65, 2                                      // 000000005020: 923C8241
	s_cmp_eq_u32 s88, 0                                        // 000000005024: BF068058
	s_cselect_b32 s61, 1, 4                                    // 000000005028: 853D8481
	s_mul_i32 s60, s61, s60                                    // 00000000502C: 923C3C3D
	v_readlane_b32 s82, v3, 0                                  // 000000005030: D2890052 00010103
	s_lshr_b32 s61, s82, 24                                    // 000000005038: 8F3D9852
	s_and_b32 s82, s82, 0xffffff                               // 00000000503C: 8652FF52 00FFFFFF
	s_mul_i32 s82, s82, s71                                    // 000000005044: 92524752
	s_mul_i32 s61, s60, s61                                    // 000000005048: 923D3D3C
	s_add_u32 s82, s82, s61                                    // 00000000504C: 80523D52
	v_mul_lo_u32 v6, v5, s82                                   // 000000005050: D2850006 0000A505
	v_readlane_b32 s82, v3, 1                                  // 000000005058: D2890052 00010303
	s_lshr_b32 s61, s82, 24                                    // 000000005060: 8F3D9852
	s_and_b32 s82, s82, 0xffffff                               // 000000005064: 8652FF52 00FFFFFF
	s_mul_i32 s82, s82, s71                                    // 00000000506C: 92524752
	s_mul_i32 s61, s60, s61                                    // 000000005070: 923D3D3C
	s_add_u32 s82, s82, s61                                    // 000000005074: 80523D52
	v_mul_lo_u32 v7, v4, s82                                   // 000000005078: D2850007 0000A504
	v_add_u32_e32 v38, v6, v7                                  // 000000005080: 684C0F06
	v_readlane_b32 s82, v3, 2                                  // 000000005084: D2890052 00010503
	s_lshr_b32 s61, s82, 24                                    // 00000000508C: 8F3D9852
	s_and_b32 s82, s82, 0xffffff                               // 000000005090: 8652FF52 00FFFFFF
	s_mul_i32 s82, s82, s71                                    // 000000005098: 92524752
	s_mul_i32 s61, s60, s61                                    // 00000000509C: 923D3D3C
	s_add_u32 s82, s82, s61                                    // 0000000050A0: 80523D52
	v_mul_lo_u32 v6, v5, s82                                   // 0000000050A4: D2850006 0000A505
	v_readlane_b32 s82, v3, 3                                  // 0000000050AC: D2890052 00010703
	s_lshr_b32 s61, s82, 24                                    // 0000000050B4: 8F3D9852
	s_and_b32 s82, s82, 0xffffff                               // 0000000050B8: 8652FF52 00FFFFFF
	s_mul_i32 s82, s82, s71                                    // 0000000050C0: 92524752
	s_mul_i32 s61, s60, s61                                    // 0000000050C4: 923D3D3C
	s_add_u32 s82, s82, s61                                    // 0000000050C8: 80523D52
	v_mul_lo_u32 v7, v4, s82                                   // 0000000050CC: D2850007 0000A504
	v_add_u32_e32 v39, v6, v7                                  // 0000000050D4: 684E0F06
	v_readlane_b32 s82, v3, 4                                  // 0000000050D8: D2890052 00010903
	s_lshr_b32 s61, s82, 24                                    // 0000000050E0: 8F3D9852
	s_and_b32 s82, s82, 0xffffff                               // 0000000050E4: 8652FF52 00FFFFFF
	s_mul_i32 s82, s82, s71                                    // 0000000050EC: 92524752
	s_mul_i32 s61, s60, s61                                    // 0000000050F0: 923D3D3C
	s_add_u32 s82, s82, s61                                    // 0000000050F4: 80523D52
	v_mul_lo_u32 v6, v5, s82                                   // 0000000050F8: D2850006 0000A505
	v_readlane_b32 s82, v3, 5                                  // 000000005100: D2890052 00010B03
	s_lshr_b32 s61, s82, 24                                    // 000000005108: 8F3D9852
	s_and_b32 s82, s82, 0xffffff                               // 00000000510C: 8652FF52 00FFFFFF
	s_mul_i32 s82, s82, s71                                    // 000000005114: 92524752
	s_mul_i32 s61, s60, s61                                    // 000000005118: 923D3D3C
	s_add_u32 s82, s82, s61                                    // 00000000511C: 80523D52
	v_mul_lo_u32 v7, v4, s82                                   // 000000005120: D2850007 0000A504
	v_add_u32_e32 v40, v6, v7                                  // 000000005128: 68500F06
	v_readlane_b32 s82, v3, 6                                  // 00000000512C: D2890052 00010D03
	s_lshr_b32 s61, s82, 24                                    // 000000005134: 8F3D9852
	s_and_b32 s82, s82, 0xffffff                               // 000000005138: 8652FF52 00FFFFFF
	s_mul_i32 s82, s82, s71                                    // 000000005140: 92524752
	s_mul_i32 s61, s60, s61                                    // 000000005144: 923D3D3C
	s_add_u32 s82, s82, s61                                    // 000000005148: 80523D52
	v_mul_lo_u32 v6, v5, s82                                   // 00000000514C: D2850006 0000A505
	v_readlane_b32 s82, v3, 7                                  // 000000005154: D2890052 00010F03
	s_lshr_b32 s61, s82, 24                                    // 00000000515C: 8F3D9852
	s_and_b32 s82, s82, 0xffffff                               // 000000005160: 8652FF52 00FFFFFF
	s_mul_i32 s82, s82, s71                                    // 000000005168: 92524752
	s_mul_i32 s61, s60, s61                                    // 00000000516C: 923D3D3C
	s_add_u32 s82, s82, s61                                    // 000000005170: 80523D52
	v_mul_lo_u32 v7, v4, s82                                   // 000000005174: D2850007 0000A504
	v_add_u32_e32 v41, v6, v7                                  // 00000000517C: 68520F06
	v_and_b32_e32 v4, 31, v0                                   // 000000005180: 2608009F
	v_lshrrev_b32_e32 v4, 1, v4                                // 000000005184: 20080881
	s_cmp_eq_u32 s88, 0                                        // 000000005188: BF068058
	s_cselect_b32 s61, 2, 4                                    // 00000000518C: 853D8482
	v_mul_lo_u32 v4, v4, s61                                   // 000000005190: D2850004 00007B04
	v_and_b32_e64 v5, v0, 1                                    // 000000005198: D1130005 00010300
	v_add_u32_e32 v4, v4, v5                                   // 0000000051A0: 68080B04
	v_lshlrev_b32_e32 v4, 2, v4                                // 0000000051A4: 24080882
	v_add_u32_e32 v38, v38, v4                                 // 0000000051A8: 684C0926
	v_add_u32_e32 v39, v39, v4                                 // 0000000051AC: 684E0927
	v_add_u32_e32 v40, v40, v4                                 // 0000000051B0: 68500928
	v_add_u32_e32 v41, v41, v4                                 // 0000000051B4: 68520929
	s_waitcnt lgkmcnt(0)                                       // 0000000051B8: BF8CC07F
	s_barrier                                                  // 0000000051BC: BF8A0000
	ds_read_b32 v48, v21                                       // 0000000051C0: D86C0000 30000015
	ds_read_b32 v49, v21 offset:64                             // 0000000051C8: D86C0040 31000015
	ds_read_b32 v50, v21 offset:2176                           // 0000000051D0: D86C0880 32000015
	ds_read_b32 v51, v21 offset:2240                           // 0000000051D8: D86C08C0 33000015
	ds_read_b32 v52, v21 offset:4352                           // 0000000051E0: D86C1100 34000015
	ds_read_b32 v53, v21 offset:4416                           // 0000000051E8: D86C1140 35000015
	ds_read_b32 v54, v21 offset:6528                           // 0000000051F0: D86C1980 36000015
	ds_read_b32 v55, v21 offset:6592                           // 0000000051F8: D86C19C0 37000015
	ds_read_b32 v56, v21 offset:8704                           // 000000005200: D86C2200 38000015
	ds_read_b32 v57, v21 offset:8768                           // 000000005208: D86C2240 39000015
	ds_read_b32 v58, v21 offset:10880                          // 000000005210: D86C2A80 3A000015
	ds_read_b32 v59, v21 offset:10944                          // 000000005218: D86C2AC0 3B000015
	s_waitcnt lgkmcnt(0)                                       // 000000005220: BF8CC07F
	s_mov_b32 s36, -1                                          // 000000005224: BEA400C1
	s_mov_b32 s37, -1                                          // 000000005228: BEA500C1
	v_mov_b32_e32 v7, 0                                        // 00000000522C: 7E0E0280
	s_or_b32 s9, s9, 0x40000                                   // 000000005230: 8709FF09 00040000
	s_mov_b64 exec, s[36:37]                                   // 000000005238: BEFE0124
	v_mov_b32_e32 v6, v38                                      // 00000000523C: 7E0C0326
	s_mov_b64 s[60:61], 0                                      // 000000005240: BEBC0180
	v_readlane_b32 s82, v3, 0                                  // 000000005244: D2890052 00010103
	s_and_b32 s82, s82, 0xffffff                               // 00000000524C: 8652FF52 00FFFFFF
	s_cmp_lt_u32 s82, s66                                      // 000000005254: BF0A4252
	s_cselect_b32 s20, s36, s60                                // 000000005258: 85143C24
	v_readlane_b32 s82, v3, 1                                  // 00000000525C: D2890052 00010303
	s_and_b32 s82, s82, 0xffffff                               // 000000005264: 8652FF52 00FFFFFF
	s_cmp_lt_u32 s82, s66                                      // 00000000526C: BF0A4252
	s_cselect_b32 s21, s36, s60                                // 000000005270: 85153C24
	s_mov_b64 exec, s[20:21]                                   // 000000005274: BEFE0114
	buffer_store_dword v48, v6, s[8:11], 0 offen               // 000000005278: E0701000 80023006
	buffer_store_dword v50, v6, s[8:11], 0 offen offset:128    // 000000005280: E0701080 80023206
	buffer_store_dword v52, v6, s[8:11], 0 offen offset:256    // 000000005288: E0701100 80023406
	s_mov_b64 exec, s[36:37]                                   // 000000005290: BEFE0124
	v_mov_b32_e32 v6, v39                                      // 000000005294: 7E0C0327
	s_mov_b64 s[60:61], 0                                      // 000000005298: BEBC0180
	v_readlane_b32 s82, v3, 2                                  // 00000000529C: D2890052 00010503
	s_and_b32 s82, s82, 0xffffff                               // 0000000052A4: 8652FF52 00FFFFFF
	s_cmp_lt_u32 s82, s66                                      // 0000000052AC: BF0A4252
	s_cselect_b32 s20, s36, s60                                // 0000000052B0: 85143C24
	v_readlane_b32 s82, v3, 3                                  // 0000000052B4: D2890052 00010703
	s_and_b32 s82, s82, 0xffffff                               // 0000000052BC: 8652FF52 00FFFFFF
	s_cmp_lt_u32 s82, s66                                      // 0000000052C4: BF0A4252
	s_cselect_b32 s21, s36, s60                                // 0000000052C8: 85153C24
	s_mov_b64 exec, s[20:21]                                   // 0000000052CC: BEFE0114
	buffer_store_dword v49, v6, s[8:11], 0 offen               // 0000000052D0: E0701000 80023106
	buffer_store_dword v51, v6, s[8:11], 0 offen offset:128    // 0000000052D8: E0701080 80023306
	buffer_store_dword v53, v6, s[8:11], 0 offen offset:256    // 0000000052E0: E0701100 80023506
	s_mov_b64 exec, s[36:37]                                   // 0000000052E8: BEFE0124
	v_mov_b32_e32 v6, v40                                      // 0000000052EC: 7E0C0328
	s_mov_b64 s[60:61], 0                                      // 0000000052F0: BEBC0180
	v_readlane_b32 s82, v3, 4                                  // 0000000052F4: D2890052 00010903
	s_and_b32 s82, s82, 0xffffff                               // 0000000052FC: 8652FF52 00FFFFFF
	s_cmp_lt_u32 s82, s66                                      // 000000005304: BF0A4252
	s_cselect_b32 s20, s36, s60                                // 000000005308: 85143C24
	v_readlane_b32 s82, v3, 5                                  // 00000000530C: D2890052 00010B03
	s_and_b32 s82, s82, 0xffffff                               // 000000005314: 8652FF52 00FFFFFF
	s_cmp_lt_u32 s82, s66                                      // 00000000531C: BF0A4252
	s_cselect_b32 s21, s36, s60                                // 000000005320: 85153C24
	s_mov_b64 exec, s[20:21]                                   // 000000005324: BEFE0114
	buffer_store_dword v54, v6, s[8:11], 0 offen               // 000000005328: E0701000 80023606
	buffer_store_dword v56, v6, s[8:11], 0 offen offset:128    // 000000005330: E0701080 80023806
	buffer_store_dword v58, v6, s[8:11], 0 offen offset:256    // 000000005338: E0701100 80023A06
	s_mov_b64 exec, s[36:37]                                   // 000000005340: BEFE0124
	v_mov_b32_e32 v6, v41                                      // 000000005344: 7E0C0329
	s_mov_b64 s[60:61], 0                                      // 000000005348: BEBC0180
	v_readlane_b32 s82, v3, 6                                  // 00000000534C: D2890052 00010D03
	s_and_b32 s82, s82, 0xffffff                               // 000000005354: 8652FF52 00FFFFFF
	s_cmp_lt_u32 s82, s66                                      // 00000000535C: BF0A4252
	s_cselect_b32 s20, s36, s60                                // 000000005360: 85143C24
	v_readlane_b32 s82, v3, 7                                  // 000000005364: D2890052 00010F03
	s_and_b32 s82, s82, 0xffffff                               // 00000000536C: 8652FF52 00FFFFFF
	s_cmp_lt_u32 s82, s66                                      // 000000005374: BF0A4252
	s_cselect_b32 s21, s36, s60                                // 000000005378: 85153C24
	s_mov_b64 exec, s[20:21]                                   // 00000000537C: BEFE0114
	buffer_store_dword v55, v6, s[8:11], 0 offen               // 000000005380: E0701000 80023706
	buffer_store_dword v57, v6, s[8:11], 0 offen offset:128    // 000000005388: E0701080 80023906
	buffer_store_dword v59, v6, s[8:11], 0 offen offset:256    // 000000005390: E0701100 80023B06
	s_mov_b64 exec, s[36:37]                                   // 000000005398: BEFE0124
	s_branch label_16CD                                        // 00000000539C: BF820CE2

00000000000053a0 <label_09E8>:
	ds_write_b64 v20, v[48:49]                                 // 0000000053A0: D89A0000 00003014
	ds_write_b64 v20, v[52:53] offset:6528                     // 0000000053A8: D89A1980 00003414
	ds_write_b64 v20, v[56:57] offset:2176                     // 0000000053B0: D89A0880 00003814
	ds_write_b64 v20, v[60:61] offset:8704                     // 0000000053B8: D89A2200 00003C14
	ds_write_b64 v20, v[64:65] offset:4352                     // 0000000053C0: D89A1100 00004014
	ds_write_b64 v20, v[68:69] offset:10880                    // 0000000053C8: D89A2A80 00004414
	v_lshrrev_b32_e32 v4, 5, v0                                // 0000000053D0: 20080085
	v_xor_b32_e32 v5, 1, v4                                    // 0000000053D4: 2A0A0881
	s_mul_i32 s60, s65, 2                                      // 0000000053D8: 923C8241
	s_cmp_eq_u32 s88, 0                                        // 0000000053DC: BF068058
	s_cselect_b32 s61, 1, 4                                    // 0000000053E0: 853D8481
	s_mul_i32 s60, s61, s60                                    // 0000000053E4: 923C3C3D
	v_readlane_b32 s82, v3, 0                                  // 0000000053E8: D2890052 00010103
	s_lshr_b32 s61, s82, 24                                    // 0000000053F0: 8F3D9852
	s_and_b32 s82, s82, 0xffffff                               // 0000000053F4: 8652FF52 00FFFFFF
	s_mul_i32 s82, s82, s71                                    // 0000000053FC: 92524752
	s_mul_i32 s61, s60, s61                                    // 000000005400: 923D3D3C
	s_add_u32 s82, s82, s61                                    // 000000005404: 80523D52
	v_mul_lo_u32 v6, v5, s82                                   // 000000005408: D2850006 0000A505
	v_readlane_b32 s82, v3, 1                                  // 000000005410: D2890052 00010303
	s_lshr_b32 s61, s82, 24                                    // 000000005418: 8F3D9852
	s_and_b32 s82, s82, 0xffffff                               // 00000000541C: 8652FF52 00FFFFFF
	s_mul_i32 s82, s82, s71                                    // 000000005424: 92524752
	s_mul_i32 s61, s60, s61                                    // 000000005428: 923D3D3C
	s_add_u32 s82, s82, s61                                    // 00000000542C: 80523D52
	v_mul_lo_u32 v7, v4, s82                                   // 000000005430: D2850007 0000A504
	v_add_u32_e32 v38, v6, v7                                  // 000000005438: 684C0F06
	v_readlane_b32 s82, v3, 2                                  // 00000000543C: D2890052 00010503
	s_lshr_b32 s61, s82, 24                                    // 000000005444: 8F3D9852
	s_and_b32 s82, s82, 0xffffff                               // 000000005448: 8652FF52 00FFFFFF
	s_mul_i32 s82, s82, s71                                    // 000000005450: 92524752
	s_mul_i32 s61, s60, s61                                    // 000000005454: 923D3D3C
	s_add_u32 s82, s82, s61                                    // 000000005458: 80523D52
	v_mul_lo_u32 v6, v5, s82                                   // 00000000545C: D2850006 0000A505
	v_readlane_b32 s82, v3, 3                                  // 000000005464: D2890052 00010703
	s_lshr_b32 s61, s82, 24                                    // 00000000546C: 8F3D9852
	s_and_b32 s82, s82, 0xffffff                               // 000000005470: 8652FF52 00FFFFFF
	s_mul_i32 s82, s82, s71                                    // 000000005478: 92524752
	s_mul_i32 s61, s60, s61                                    // 00000000547C: 923D3D3C
	s_add_u32 s82, s82, s61                                    // 000000005480: 80523D52
	v_mul_lo_u32 v7, v4, s82                                   // 000000005484: D2850007 0000A504
	v_add_u32_e32 v39, v6, v7                                  // 00000000548C: 684E0F06
	v_readlane_b32 s82, v3, 4                                  // 000000005490: D2890052 00010903
	s_lshr_b32 s61, s82, 24                                    // 000000005498: 8F3D9852
	s_and_b32 s82, s82, 0xffffff                               // 00000000549C: 8652FF52 00FFFFFF
	s_mul_i32 s82, s82, s71                                    // 0000000054A4: 92524752
	s_mul_i32 s61, s60, s61                                    // 0000000054A8: 923D3D3C
	s_add_u32 s82, s82, s61                                    // 0000000054AC: 80523D52
	v_mul_lo_u32 v6, v5, s82                                   // 0000000054B0: D2850006 0000A505
	v_readlane_b32 s82, v3, 5                                  // 0000000054B8: D2890052 00010B03
	s_lshr_b32 s61, s82, 24                                    // 0000000054C0: 8F3D9852
	s_and_b32 s82, s82, 0xffffff                               // 0000000054C4: 8652FF52 00FFFFFF
	s_mul_i32 s82, s82, s71                                    // 0000000054CC: 92524752
	s_mul_i32 s61, s60, s61                                    // 0000000054D0: 923D3D3C
	s_add_u32 s82, s82, s61                                    // 0000000054D4: 80523D52
	v_mul_lo_u32 v7, v4, s82                                   // 0000000054D8: D2850007 0000A504
	v_add_u32_e32 v40, v6, v7                                  // 0000000054E0: 68500F06
	v_readlane_b32 s82, v3, 6                                  // 0000000054E4: D2890052 00010D03
	s_lshr_b32 s61, s82, 24                                    // 0000000054EC: 8F3D9852
	s_and_b32 s82, s82, 0xffffff                               // 0000000054F0: 8652FF52 00FFFFFF
	s_mul_i32 s82, s82, s71                                    // 0000000054F8: 92524752
	s_mul_i32 s61, s60, s61                                    // 0000000054FC: 923D3D3C
	s_add_u32 s82, s82, s61                                    // 000000005500: 80523D52
	v_mul_lo_u32 v6, v5, s82                                   // 000000005504: D2850006 0000A505
	v_readlane_b32 s82, v3, 7                                  // 00000000550C: D2890052 00010F03
	s_lshr_b32 s61, s82, 24                                    // 000000005514: 8F3D9852
	s_and_b32 s82, s82, 0xffffff                               // 000000005518: 8652FF52 00FFFFFF
	s_mul_i32 s82, s82, s71                                    // 000000005520: 92524752
	s_mul_i32 s61, s60, s61                                    // 000000005524: 923D3D3C
	s_add_u32 s82, s82, s61                                    // 000000005528: 80523D52
	v_mul_lo_u32 v7, v4, s82                                   // 00000000552C: D2850007 0000A504
	v_add_u32_e32 v41, v6, v7                                  // 000000005534: 68520F06
	v_and_b32_e32 v4, 31, v0                                   // 000000005538: 2608009F
	v_lshrrev_b32_e32 v4, 1, v4                                // 00000000553C: 20080881
	s_cmp_eq_u32 s88, 0                                        // 000000005540: BF068058
	s_cselect_b32 s61, 2, 4                                    // 000000005544: 853D8482
	v_mul_lo_u32 v4, v4, s61                                   // 000000005548: D2850004 00007B04
	v_and_b32_e64 v5, v0, 1                                    // 000000005550: D1130005 00010300
	v_add_u32_e32 v4, v4, v5                                   // 000000005558: 68080B04
	v_lshlrev_b32_e32 v4, 2, v4                                // 00000000555C: 24080882
	v_add_u32_e32 v38, v38, v4                                 // 000000005560: 684C0926
	v_add_u32_e32 v39, v39, v4                                 // 000000005564: 684E0927
	v_add_u32_e32 v40, v40, v4                                 // 000000005568: 68500928
	v_add_u32_e32 v41, v41, v4                                 // 00000000556C: 68520929
	s_waitcnt lgkmcnt(0)                                       // 000000005570: BF8CC07F
	s_barrier                                                  // 000000005574: BF8A0000
	ds_read_b32 v48, v21                                       // 000000005578: D86C0000 30000015
	ds_read_b32 v49, v21 offset:64                             // 000000005580: D86C0040 31000015
	ds_read_b32 v52, v21 offset:2176                           // 000000005588: D86C0880 34000015
	ds_read_b32 v53, v21 offset:2240                           // 000000005590: D86C08C0 35000015
	ds_read_b32 v56, v21 offset:4352                           // 000000005598: D86C1100 38000015
	ds_read_b32 v57, v21 offset:4416                           // 0000000055A0: D86C1140 39000015
	ds_read_b32 v60, v21 offset:6528                           // 0000000055A8: D86C1980 3C000015
	ds_read_b32 v61, v21 offset:6592                           // 0000000055B0: D86C19C0 3D000015
	ds_read_b32 v64, v21 offset:8704                           // 0000000055B8: D86C2200 40000015
	ds_read_b32 v65, v21 offset:8768                           // 0000000055C0: D86C2240 41000015
	ds_read_b32 v68, v21 offset:10880                          // 0000000055C8: D86C2A80 44000015
	ds_read_b32 v69, v21 offset:10944                          // 0000000055D0: D86C2AC0 45000015
	s_waitcnt lgkmcnt(0)                                       // 0000000055D8: BF8CC07F
	s_mov_b32 s36, -1                                          // 0000000055DC: BEA400C1
	s_mov_b32 s37, -1                                          // 0000000055E0: BEA500C1
	v_mov_b32_e32 v7, 0                                        // 0000000055E4: 7E0E0280
	s_mov_b64 exec, s[36:37]                                   // 0000000055E8: BEFE0124
	v_mov_b32_e32 v6, v38                                      // 0000000055EC: 7E0C0326
	s_mov_b64 s[60:61], 0                                      // 0000000055F0: BEBC0180
	v_readlane_b32 s82, v3, 0                                  // 0000000055F4: D2890052 00010103
	s_and_b32 s82, s82, 0xffffff                               // 0000000055FC: 8652FF52 00FFFFFF
	s_cmp_lt_u32 s82, s66                                      // 000000005604: BF0A4252
	s_cselect_b32 s20, s36, s60                                // 000000005608: 85143C24
	v_readlane_b32 s82, v3, 1                                  // 00000000560C: D2890052 00010303
	s_and_b32 s82, s82, 0xffffff                               // 000000005614: 8652FF52 00FFFFFF
	s_cmp_lt_u32 s82, s66                                      // 00000000561C: BF0A4252
	s_cselect_b32 s21, s36, s60                                // 000000005620: 85153C24
	s_mov_b64 exec, s[20:21]                                   // 000000005624: BEFE0114
	global_atomic_add_f32 v6, v48, s[8:9]                      // 000000005628: DD348000 00083006
	global_atomic_add_f32 v6, v52, s[8:9] offset:256           // 000000005630: DD348100 00083406
	global_atomic_add_f32 v6, v56, s[8:9] offset:512           // 000000005638: DD348200 00083806
	s_mov_b64 exec, s[36:37]                                   // 000000005640: BEFE0124
	v_mov_b32_e32 v6, v39                                      // 000000005644: 7E0C0327
	s_mov_b64 s[60:61], 0                                      // 000000005648: BEBC0180
	v_readlane_b32 s82, v3, 2                                  // 00000000564C: D2890052 00010503
	s_and_b32 s82, s82, 0xffffff                               // 000000005654: 8652FF52 00FFFFFF
	s_cmp_lt_u32 s82, s66                                      // 00000000565C: BF0A4252
	s_cselect_b32 s20, s36, s60                                // 000000005660: 85143C24
	v_readlane_b32 s82, v3, 3                                  // 000000005664: D2890052 00010703
	s_and_b32 s82, s82, 0xffffff                               // 00000000566C: 8652FF52 00FFFFFF
	s_cmp_lt_u32 s82, s66                                      // 000000005674: BF0A4252
	s_cselect_b32 s21, s36, s60                                // 000000005678: 85153C24
	s_mov_b64 exec, s[20:21]                                   // 00000000567C: BEFE0114
	global_atomic_add_f32 v6, v49, s[8:9]                      // 000000005680: DD348000 00083106
	global_atomic_add_f32 v6, v53, s[8:9] offset:256           // 000000005688: DD348100 00083506
	global_atomic_add_f32 v6, v57, s[8:9] offset:512           // 000000005690: DD348200 00083906
	s_mov_b64 exec, s[36:37]                                   // 000000005698: BEFE0124
	v_mov_b32_e32 v6, v40                                      // 00000000569C: 7E0C0328
	s_mov_b64 s[60:61], 0                                      // 0000000056A0: BEBC0180
	v_readlane_b32 s82, v3, 4                                  // 0000000056A4: D2890052 00010903
	s_and_b32 s82, s82, 0xffffff                               // 0000000056AC: 8652FF52 00FFFFFF
	s_cmp_lt_u32 s82, s66                                      // 0000000056B4: BF0A4252
	s_cselect_b32 s20, s36, s60                                // 0000000056B8: 85143C24
	v_readlane_b32 s82, v3, 5                                  // 0000000056BC: D2890052 00010B03
	s_and_b32 s82, s82, 0xffffff                               // 0000000056C4: 8652FF52 00FFFFFF
	s_cmp_lt_u32 s82, s66                                      // 0000000056CC: BF0A4252
	s_cselect_b32 s21, s36, s60                                // 0000000056D0: 85153C24
	s_mov_b64 exec, s[20:21]                                   // 0000000056D4: BEFE0114
	global_atomic_add_f32 v6, v60, s[8:9]                      // 0000000056D8: DD348000 00083C06
	global_atomic_add_f32 v6, v64, s[8:9] offset:256           // 0000000056E0: DD348100 00084006
	global_atomic_add_f32 v6, v68, s[8:9] offset:512           // 0000000056E8: DD348200 00084406
	s_mov_b64 exec, s[36:37]                                   // 0000000056F0: BEFE0124
	v_mov_b32_e32 v6, v41                                      // 0000000056F4: 7E0C0329
	s_mov_b64 s[60:61], 0                                      // 0000000056F8: BEBC0180
	v_readlane_b32 s82, v3, 6                                  // 0000000056FC: D2890052 00010D03
	s_and_b32 s82, s82, 0xffffff                               // 000000005704: 8652FF52 00FFFFFF
	s_cmp_lt_u32 s82, s66                                      // 00000000570C: BF0A4252
	s_cselect_b32 s20, s36, s60                                // 000000005710: 85143C24
	v_readlane_b32 s82, v3, 7                                  // 000000005714: D2890052 00010F03
	s_and_b32 s82, s82, 0xffffff                               // 00000000571C: 8652FF52 00FFFFFF
	s_cmp_lt_u32 s82, s66                                      // 000000005724: BF0A4252
	s_cselect_b32 s21, s36, s60                                // 000000005728: 85153C24
	s_mov_b64 exec, s[20:21]                                   // 00000000572C: BEFE0114
	global_atomic_add_f32 v6, v61, s[8:9]                      // 000000005730: DD348000 00083D06
	global_atomic_add_f32 v6, v65, s[8:9] offset:256           // 000000005738: DD348100 00084106
	global_atomic_add_f32 v6, v69, s[8:9] offset:512           // 000000005740: DD348200 00084506
	s_mov_b64 exec, s[36:37]                                   // 000000005748: BEFE0124
	ds_write_b64 v20, v[50:51]                                 // 00000000574C: D89A0000 00003214
	ds_write_b64 v20, v[54:55] offset:6528                     // 000000005754: D89A1980 00003614
	ds_write_b64 v20, v[58:59] offset:2176                     // 00000000575C: D89A0880 00003A14
	ds_write_b64 v20, v[62:63] offset:8704                     // 000000005764: D89A2200 00003E14
	ds_write_b64 v20, v[66:67] offset:4352                     // 00000000576C: D89A1100 00004214
	ds_write_b64 v20, v[70:71] offset:10880                    // 000000005774: D89A2A80 00004614
	s_waitcnt lgkmcnt(0)                                       // 00000000577C: BF8CC07F
	s_barrier                                                  // 000000005780: BF8A0000
	ds_read_b32 v50, v21                                       // 000000005784: D86C0000 32000015
	ds_read_b32 v51, v21 offset:64                             // 00000000578C: D86C0040 33000015
	ds_read_b32 v54, v21 offset:2176                           // 000000005794: D86C0880 36000015
	ds_read_b32 v55, v21 offset:2240                           // 00000000579C: D86C08C0 37000015
	ds_read_b32 v58, v21 offset:4352                           // 0000000057A4: D86C1100 3A000015
	ds_read_b32 v59, v21 offset:4416                           // 0000000057AC: D86C1140 3B000015
	ds_read_b32 v62, v21 offset:6528                           // 0000000057B4: D86C1980 3E000015
	ds_read_b32 v63, v21 offset:6592                           // 0000000057BC: D86C19C0 3F000015
	ds_read_b32 v66, v21 offset:8704                           // 0000000057C4: D86C2200 42000015
	ds_read_b32 v67, v21 offset:8768                           // 0000000057CC: D86C2240 43000015
	ds_read_b32 v70, v21 offset:10880                          // 0000000057D4: D86C2A80 46000015
	ds_read_b32 v71, v21 offset:10944                          // 0000000057DC: D86C2AC0 47000015
	s_waitcnt lgkmcnt(0)                                       // 0000000057E4: BF8CC07F
	v_mov_b32_e32 v7, 0                                        // 0000000057E8: 7E0E0280
	s_mov_b64 exec, s[36:37]                                   // 0000000057EC: BEFE0124
	v_mov_b32_e32 v6, v38                                      // 0000000057F0: 7E0C0326
	s_mov_b64 s[60:61], 0                                      // 0000000057F4: BEBC0180
	v_readlane_b32 s82, v3, 0                                  // 0000000057F8: D2890052 00010103
	s_and_b32 s82, s82, 0xffffff                               // 000000005800: 8652FF52 00FFFFFF
	s_cmp_lt_u32 s82, s66                                      // 000000005808: BF0A4252
	s_cselect_b32 s20, s36, s60                                // 00000000580C: 85143C24
	v_readlane_b32 s82, v3, 1                                  // 000000005810: D2890052 00010303
	s_and_b32 s82, s82, 0xffffff                               // 000000005818: 8652FF52 00FFFFFF
	s_cmp_lt_u32 s82, s66                                      // 000000005820: BF0A4252
	s_cselect_b32 s21, s36, s60                                // 000000005824: 85153C24
	s_mov_b64 exec, s[20:21]                                   // 000000005828: BEFE0114
	global_atomic_add_f32 v6, v50, s[8:9] offset:8             // 00000000582C: DD348008 00083206
	global_atomic_add_f32 v6, v54, s[8:9] offset:264           // 000000005834: DD348108 00083606
	global_atomic_add_f32 v6, v58, s[8:9] offset:520           // 00000000583C: DD348208 00083A06
	s_mov_b64 exec, s[36:37]                                   // 000000005844: BEFE0124
	v_mov_b32_e32 v6, v39                                      // 000000005848: 7E0C0327
	s_mov_b64 s[60:61], 0                                      // 00000000584C: BEBC0180
	v_readlane_b32 s82, v3, 2                                  // 000000005850: D2890052 00010503
	s_and_b32 s82, s82, 0xffffff                               // 000000005858: 8652FF52 00FFFFFF
	s_cmp_lt_u32 s82, s66                                      // 000000005860: BF0A4252
	s_cselect_b32 s20, s36, s60                                // 000000005864: 85143C24
	v_readlane_b32 s82, v3, 3                                  // 000000005868: D2890052 00010703
	s_and_b32 s82, s82, 0xffffff                               // 000000005870: 8652FF52 00FFFFFF
	s_cmp_lt_u32 s82, s66                                      // 000000005878: BF0A4252
	s_cselect_b32 s21, s36, s60                                // 00000000587C: 85153C24
	s_mov_b64 exec, s[20:21]                                   // 000000005880: BEFE0114
	global_atomic_add_f32 v6, v51, s[8:9] offset:8             // 000000005884: DD348008 00083306
	global_atomic_add_f32 v6, v55, s[8:9] offset:264           // 00000000588C: DD348108 00083706
	global_atomic_add_f32 v6, v59, s[8:9] offset:520           // 000000005894: DD348208 00083B06
	s_mov_b64 exec, s[36:37]                                   // 00000000589C: BEFE0124
	v_mov_b32_e32 v6, v40                                      // 0000000058A0: 7E0C0328
	s_mov_b64 s[60:61], 0                                      // 0000000058A4: BEBC0180
	v_readlane_b32 s82, v3, 4                                  // 0000000058A8: D2890052 00010903
	s_and_b32 s82, s82, 0xffffff                               // 0000000058B0: 8652FF52 00FFFFFF
	s_cmp_lt_u32 s82, s66                                      // 0000000058B8: BF0A4252
	s_cselect_b32 s20, s36, s60                                // 0000000058BC: 85143C24
	v_readlane_b32 s82, v3, 5                                  // 0000000058C0: D2890052 00010B03
	s_and_b32 s82, s82, 0xffffff                               // 0000000058C8: 8652FF52 00FFFFFF
	s_cmp_lt_u32 s82, s66                                      // 0000000058D0: BF0A4252
	s_cselect_b32 s21, s36, s60                                // 0000000058D4: 85153C24
	s_mov_b64 exec, s[20:21]                                   // 0000000058D8: BEFE0114
	global_atomic_add_f32 v6, v62, s[8:9] offset:8             // 0000000058DC: DD348008 00083E06
	global_atomic_add_f32 v6, v66, s[8:9] offset:264           // 0000000058E4: DD348108 00084206
	global_atomic_add_f32 v6, v70, s[8:9] offset:520           // 0000000058EC: DD348208 00084606
	s_mov_b64 exec, s[36:37]                                   // 0000000058F4: BEFE0124
	v_mov_b32_e32 v6, v41                                      // 0000000058F8: 7E0C0329
	s_mov_b64 s[60:61], 0                                      // 0000000058FC: BEBC0180
	v_readlane_b32 s82, v3, 6                                  // 000000005900: D2890052 00010D03
	s_and_b32 s82, s82, 0xffffff                               // 000000005908: 8652FF52 00FFFFFF
	s_cmp_lt_u32 s82, s66                                      // 000000005910: BF0A4252
	s_cselect_b32 s20, s36, s60                                // 000000005914: 85143C24
	v_readlane_b32 s82, v3, 7                                  // 000000005918: D2890052 00010F03
	s_and_b32 s82, s82, 0xffffff                               // 000000005920: 8652FF52 00FFFFFF
	s_cmp_lt_u32 s82, s66                                      // 000000005928: BF0A4252
	s_cselect_b32 s21, s36, s60                                // 00000000592C: 85153C24
	s_mov_b64 exec, s[20:21]                                   // 000000005930: BEFE0114
	global_atomic_add_f32 v6, v63, s[8:9] offset:8             // 000000005934: DD348008 00083F06
	global_atomic_add_f32 v6, v67, s[8:9] offset:264           // 00000000593C: DD348108 00084306
	global_atomic_add_f32 v6, v71, s[8:9] offset:520           // 000000005944: DD348208 00084706
	s_mov_b64 exec, s[36:37]                                   // 00000000594C: BEFE0124
	ds_write_b64 v20, v[72:73]                                 // 000000005950: D89A0000 00004814
	ds_write_b64 v20, v[76:77] offset:6528                     // 000000005958: D89A1980 00004C14
	ds_write_b64 v20, v[80:81] offset:2176                     // 000000005960: D89A0880 00005014
	ds_write_b64 v20, v[84:85] offset:8704                     // 000000005968: D89A2200 00005414
	ds_write_b64 v20, v[88:89] offset:4352                     // 000000005970: D89A1100 00005814
	ds_write_b64 v20, v[92:93] offset:10880                    // 000000005978: D89A2A80 00005C14
	s_waitcnt lgkmcnt(0)                                       // 000000005980: BF8CC07F
	s_barrier                                                  // 000000005984: BF8A0000
	ds_read_b32 v72, v21                                       // 000000005988: D86C0000 48000015
	ds_read_b32 v73, v21 offset:64                             // 000000005990: D86C0040 49000015
	ds_read_b32 v76, v21 offset:2176                           // 000000005998: D86C0880 4C000015
	ds_read_b32 v77, v21 offset:2240                           // 0000000059A0: D86C08C0 4D000015
	ds_read_b32 v80, v21 offset:4352                           // 0000000059A8: D86C1100 50000015
	ds_read_b32 v81, v21 offset:4416                           // 0000000059B0: D86C1140 51000015
	ds_read_b32 v84, v21 offset:6528                           // 0000000059B8: D86C1980 54000015
	ds_read_b32 v85, v21 offset:6592                           // 0000000059C0: D86C19C0 55000015
	ds_read_b32 v88, v21 offset:8704                           // 0000000059C8: D86C2200 58000015
	ds_read_b32 v89, v21 offset:8768                           // 0000000059D0: D86C2240 59000015
	ds_read_b32 v92, v21 offset:10880                          // 0000000059D8: D86C2A80 5C000015
	ds_read_b32 v93, v21 offset:10944                          // 0000000059E0: D86C2AC0 5D000015
	s_mul_i32 s60, s65, 4                                      // 0000000059E8: 923C8441
	s_add_u32 s8, s60, s8                                      // 0000000059EC: 8008083C
	s_addc_u32 s9, 0, s9                                       // 0000000059F0: 82090980
	s_waitcnt lgkmcnt(0)                                       // 0000000059F4: BF8CC07F
	v_mov_b32_e32 v7, 0                                        // 0000000059F8: 7E0E0280
	s_mov_b64 exec, s[36:37]                                   // 0000000059FC: BEFE0124
	v_mov_b32_e32 v6, v38                                      // 000000005A00: 7E0C0326
	s_mov_b64 s[60:61], 0                                      // 000000005A04: BEBC0180
	v_readlane_b32 s82, v3, 0                                  // 000000005A08: D2890052 00010103
	s_and_b32 s82, s82, 0xffffff                               // 000000005A10: 8652FF52 00FFFFFF
	s_cmp_lt_u32 s82, s66                                      // 000000005A18: BF0A4252
	s_cselect_b32 s20, s36, s60                                // 000000005A1C: 85143C24
	v_readlane_b32 s82, v3, 1                                  // 000000005A20: D2890052 00010303
	s_and_b32 s82, s82, 0xffffff                               // 000000005A28: 8652FF52 00FFFFFF
	s_cmp_lt_u32 s82, s66                                      // 000000005A30: BF0A4252
	s_cselect_b32 s21, s36, s60                                // 000000005A34: 85153C24
	s_mov_b64 exec, s[20:21]                                   // 000000005A38: BEFE0114
	global_atomic_add_f32 v6, v72, s[8:9]                      // 000000005A3C: DD348000 00084806
	global_atomic_add_f32 v6, v76, s[8:9] offset:256           // 000000005A44: DD348100 00084C06
	global_atomic_add_f32 v6, v80, s[8:9] offset:512           // 000000005A4C: DD348200 00085006
	s_mov_b64 exec, s[36:37]                                   // 000000005A54: BEFE0124
	v_mov_b32_e32 v6, v39                                      // 000000005A58: 7E0C0327
	s_mov_b64 s[60:61], 0                                      // 000000005A5C: BEBC0180
	v_readlane_b32 s82, v3, 2                                  // 000000005A60: D2890052 00010503
	s_and_b32 s82, s82, 0xffffff                               // 000000005A68: 8652FF52 00FFFFFF
	s_cmp_lt_u32 s82, s66                                      // 000000005A70: BF0A4252
	s_cselect_b32 s20, s36, s60                                // 000000005A74: 85143C24
	v_readlane_b32 s82, v3, 3                                  // 000000005A78: D2890052 00010703
	s_and_b32 s82, s82, 0xffffff                               // 000000005A80: 8652FF52 00FFFFFF
	s_cmp_lt_u32 s82, s66                                      // 000000005A88: BF0A4252
	s_cselect_b32 s21, s36, s60                                // 000000005A8C: 85153C24
	s_mov_b64 exec, s[20:21]                                   // 000000005A90: BEFE0114
	global_atomic_add_f32 v6, v73, s[8:9]                      // 000000005A94: DD348000 00084906
	global_atomic_add_f32 v6, v77, s[8:9] offset:256           // 000000005A9C: DD348100 00084D06
	global_atomic_add_f32 v6, v81, s[8:9] offset:512           // 000000005AA4: DD348200 00085106
	s_mov_b64 exec, s[36:37]                                   // 000000005AAC: BEFE0124
	v_mov_b32_e32 v6, v40                                      // 000000005AB0: 7E0C0328
	s_mov_b64 s[60:61], 0                                      // 000000005AB4: BEBC0180
	v_readlane_b32 s82, v3, 4                                  // 000000005AB8: D2890052 00010903
	s_and_b32 s82, s82, 0xffffff                               // 000000005AC0: 8652FF52 00FFFFFF
	s_cmp_lt_u32 s82, s66                                      // 000000005AC8: BF0A4252
	s_cselect_b32 s20, s36, s60                                // 000000005ACC: 85143C24
	v_readlane_b32 s82, v3, 5                                  // 000000005AD0: D2890052 00010B03
	s_and_b32 s82, s82, 0xffffff                               // 000000005AD8: 8652FF52 00FFFFFF
	s_cmp_lt_u32 s82, s66                                      // 000000005AE0: BF0A4252
	s_cselect_b32 s21, s36, s60                                // 000000005AE4: 85153C24
	s_mov_b64 exec, s[20:21]                                   // 000000005AE8: BEFE0114
	global_atomic_add_f32 v6, v84, s[8:9]                      // 000000005AEC: DD348000 00085406
	global_atomic_add_f32 v6, v88, s[8:9] offset:256           // 000000005AF4: DD348100 00085806
	global_atomic_add_f32 v6, v92, s[8:9] offset:512           // 000000005AFC: DD348200 00085C06
	s_mov_b64 exec, s[36:37]                                   // 000000005B04: BEFE0124
	v_mov_b32_e32 v6, v41                                      // 000000005B08: 7E0C0329
	s_mov_b64 s[60:61], 0                                      // 000000005B0C: BEBC0180
	v_readlane_b32 s82, v3, 6                                  // 000000005B10: D2890052 00010D03
	s_and_b32 s82, s82, 0xffffff                               // 000000005B18: 8652FF52 00FFFFFF
	s_cmp_lt_u32 s82, s66                                      // 000000005B20: BF0A4252
	s_cselect_b32 s20, s36, s60                                // 000000005B24: 85143C24
	v_readlane_b32 s82, v3, 7                                  // 000000005B28: D2890052 00010F03
	s_and_b32 s82, s82, 0xffffff                               // 000000005B30: 8652FF52 00FFFFFF
	s_cmp_lt_u32 s82, s66                                      // 000000005B38: BF0A4252
	s_cselect_b32 s21, s36, s60                                // 000000005B3C: 85153C24
	s_mov_b64 exec, s[20:21]                                   // 000000005B40: BEFE0114
	global_atomic_add_f32 v6, v85, s[8:9]                      // 000000005B44: DD348000 00085506
	global_atomic_add_f32 v6, v89, s[8:9] offset:256           // 000000005B4C: DD348100 00085906
	global_atomic_add_f32 v6, v93, s[8:9] offset:512           // 000000005B54: DD348200 00085D06
	s_mov_b64 exec, s[36:37]                                   // 000000005B5C: BEFE0124
	ds_write_b64 v20, v[74:75]                                 // 000000005B60: D89A0000 00004A14
	ds_write_b64 v20, v[78:79] offset:6528                     // 000000005B68: D89A1980 00004E14
	ds_write_b64 v20, v[82:83] offset:2176                     // 000000005B70: D89A0880 00005214
	ds_write_b64 v20, v[86:87] offset:8704                     // 000000005B78: D89A2200 00005614
	ds_write_b64 v20, v[90:91] offset:4352                     // 000000005B80: D89A1100 00005A14
	ds_write_b64 v20, v[94:95] offset:10880                    // 000000005B88: D89A2A80 00005E14
	s_waitcnt lgkmcnt(0)                                       // 000000005B90: BF8CC07F
	s_barrier                                                  // 000000005B94: BF8A0000
	ds_read_b32 v74, v21                                       // 000000005B98: D86C0000 4A000015
	ds_read_b32 v75, v21 offset:64                             // 000000005BA0: D86C0040 4B000015
	ds_read_b32 v78, v21 offset:2176                           // 000000005BA8: D86C0880 4E000015
	ds_read_b32 v79, v21 offset:2240                           // 000000005BB0: D86C08C0 4F000015
	ds_read_b32 v82, v21 offset:4352                           // 000000005BB8: D86C1100 52000015
	ds_read_b32 v83, v21 offset:4416                           // 000000005BC0: D86C1140 53000015
	ds_read_b32 v86, v21 offset:6528                           // 000000005BC8: D86C1980 56000015
	ds_read_b32 v87, v21 offset:6592                           // 000000005BD0: D86C19C0 57000015
	ds_read_b32 v90, v21 offset:8704                           // 000000005BD8: D86C2200 5A000015
	ds_read_b32 v91, v21 offset:8768                           // 000000005BE0: D86C2240 5B000015
	ds_read_b32 v94, v21 offset:10880                          // 000000005BE8: D86C2A80 5E000015
	ds_read_b32 v95, v21 offset:10944                          // 000000005BF0: D86C2AC0 5F000015
	s_waitcnt lgkmcnt(0)                                       // 000000005BF8: BF8CC07F
	v_mov_b32_e32 v7, 0                                        // 000000005BFC: 7E0E0280
	s_mov_b64 exec, s[36:37]                                   // 000000005C00: BEFE0124
	v_mov_b32_e32 v6, v38                                      // 000000005C04: 7E0C0326
	s_mov_b64 s[60:61], 0                                      // 000000005C08: BEBC0180
	v_readlane_b32 s82, v3, 0                                  // 000000005C0C: D2890052 00010103
	s_and_b32 s82, s82, 0xffffff                               // 000000005C14: 8652FF52 00FFFFFF
	s_cmp_lt_u32 s82, s66                                      // 000000005C1C: BF0A4252
	s_cselect_b32 s20, s36, s60                                // 000000005C20: 85143C24
	v_readlane_b32 s82, v3, 1                                  // 000000005C24: D2890052 00010303
	s_and_b32 s82, s82, 0xffffff                               // 000000005C2C: 8652FF52 00FFFFFF
	s_cmp_lt_u32 s82, s66                                      // 000000005C34: BF0A4252
	s_cselect_b32 s21, s36, s60                                // 000000005C38: 85153C24
	s_mov_b64 exec, s[20:21]                                   // 000000005C3C: BEFE0114
	global_atomic_add_f32 v6, v74, s[8:9] offset:8             // 000000005C40: DD348008 00084A06
	global_atomic_add_f32 v6, v78, s[8:9] offset:264           // 000000005C48: DD348108 00084E06
	global_atomic_add_f32 v6, v82, s[8:9] offset:520           // 000000005C50: DD348208 00085206
	s_mov_b64 exec, s[36:37]                                   // 000000005C58: BEFE0124
	v_mov_b32_e32 v6, v39                                      // 000000005C5C: 7E0C0327
	s_mov_b64 s[60:61], 0                                      // 000000005C60: BEBC0180
	v_readlane_b32 s82, v3, 2                                  // 000000005C64: D2890052 00010503
	s_and_b32 s82, s82, 0xffffff                               // 000000005C6C: 8652FF52 00FFFFFF
	s_cmp_lt_u32 s82, s66                                      // 000000005C74: BF0A4252
	s_cselect_b32 s20, s36, s60                                // 000000005C78: 85143C24
	v_readlane_b32 s82, v3, 3                                  // 000000005C7C: D2890052 00010703
	s_and_b32 s82, s82, 0xffffff                               // 000000005C84: 8652FF52 00FFFFFF
	s_cmp_lt_u32 s82, s66                                      // 000000005C8C: BF0A4252
	s_cselect_b32 s21, s36, s60                                // 000000005C90: 85153C24
	s_mov_b64 exec, s[20:21]                                   // 000000005C94: BEFE0114
	global_atomic_add_f32 v6, v75, s[8:9] offset:8             // 000000005C98: DD348008 00084B06
	global_atomic_add_f32 v6, v79, s[8:9] offset:264           // 000000005CA0: DD348108 00084F06
	global_atomic_add_f32 v6, v83, s[8:9] offset:520           // 000000005CA8: DD348208 00085306
	s_mov_b64 exec, s[36:37]                                   // 000000005CB0: BEFE0124
	v_mov_b32_e32 v6, v40                                      // 000000005CB4: 7E0C0328
	s_mov_b64 s[60:61], 0                                      // 000000005CB8: BEBC0180
	v_readlane_b32 s82, v3, 4                                  // 000000005CBC: D2890052 00010903
	s_and_b32 s82, s82, 0xffffff                               // 000000005CC4: 8652FF52 00FFFFFF
	s_cmp_lt_u32 s82, s66                                      // 000000005CCC: BF0A4252
	s_cselect_b32 s20, s36, s60                                // 000000005CD0: 85143C24
	v_readlane_b32 s82, v3, 5                                  // 000000005CD4: D2890052 00010B03
	s_and_b32 s82, s82, 0xffffff                               // 000000005CDC: 8652FF52 00FFFFFF
	s_cmp_lt_u32 s82, s66                                      // 000000005CE4: BF0A4252
	s_cselect_b32 s21, s36, s60                                // 000000005CE8: 85153C24
	s_mov_b64 exec, s[20:21]                                   // 000000005CEC: BEFE0114
	global_atomic_add_f32 v6, v86, s[8:9] offset:8             // 000000005CF0: DD348008 00085606
	global_atomic_add_f32 v6, v90, s[8:9] offset:264           // 000000005CF8: DD348108 00085A06
	global_atomic_add_f32 v6, v94, s[8:9] offset:520           // 000000005D00: DD348208 00085E06
	s_mov_b64 exec, s[36:37]                                   // 000000005D08: BEFE0124
	v_mov_b32_e32 v6, v41                                      // 000000005D0C: 7E0C0329
	s_mov_b64 s[60:61], 0                                      // 000000005D10: BEBC0180
	v_readlane_b32 s82, v3, 6                                  // 000000005D14: D2890052 00010D03
	s_and_b32 s82, s82, 0xffffff                               // 000000005D1C: 8652FF52 00FFFFFF
	s_cmp_lt_u32 s82, s66                                      // 000000005D24: BF0A4252
	s_cselect_b32 s20, s36, s60                                // 000000005D28: 85143C24
	v_readlane_b32 s82, v3, 7                                  // 000000005D2C: D2890052 00010F03
	s_and_b32 s82, s82, 0xffffff                               // 000000005D34: 8652FF52 00FFFFFF
	s_cmp_lt_u32 s82, s66                                      // 000000005D3C: BF0A4252
	s_cselect_b32 s21, s36, s60                                // 000000005D40: 85153C24
	s_mov_b64 exec, s[20:21]                                   // 000000005D44: BEFE0114
	global_atomic_add_f32 v6, v87, s[8:9] offset:8             // 000000005D48: DD348008 00085706
	global_atomic_add_f32 v6, v91, s[8:9] offset:264           // 000000005D50: DD348108 00085B06
	global_atomic_add_f32 v6, v95, s[8:9] offset:520           // 000000005D58: DD348208 00085F06
	s_mov_b64 exec, s[36:37]                                   // 000000005D60: BEFE0124
	s_branch label_16CD                                        // 000000005D64: BF820A70

0000000000005d68 <label_0C5D>:
	s_waitcnt vmcnt(10) lgkmcnt(0)                             // 000000005D68: BF8C007A
	v_mfma_i32_16x16x32_i8 v[48:51], a[32:33], a[0:1], v[48:51]// 000000005D6C: D3D70030 1CC20120
	buffer_load_dwordx4 a[80:83], v42, s[24:27], 0 offen       // 000000005D74: E05C1000 8086502A
	v_mfma_i32_16x16x32_i8 v[48:51], a[34:35], a[2:3], v[48:51]// 000000005D7C: D3D70030 1CC20522
	v_mfma_i32_16x16x32_i8 v[48:51], a[36:37], a[4:5], v[48:51]// 000000005D84: D3D70030 1CC20924
	v_mfma_i32_16x16x32_i8 v[48:51], a[38:39], a[6:7], v[48:51]// 000000005D8C: D3D70030 1CC20D26
	v_mfma_i32_16x16x32_i8 v[56:59], a[40:41], a[0:1], v[56:59]// 000000005D94: D3D70038 1CE20128
	buffer_load_dwordx4 a[84:87], v42, s[24:27], 0 offen offset:1024// 000000005D9C: E05C1400 8086542A
	v_mfma_i32_16x16x32_i8 v[56:59], a[42:43], a[2:3], v[56:59]// 000000005DA4: D3D70038 1CE2052A
	v_mfma_i32_16x16x32_i8 v[56:59], a[44:45], a[4:5], v[56:59]// 000000005DAC: D3D70038 1CE2092C
	v_mfma_i32_16x16x32_i8 v[56:59], a[46:47], a[6:7], v[56:59]// 000000005DB4: D3D70038 1CE20D2E
	v_mfma_i32_16x16x32_i8 v[64:67], a[48:49], a[0:1], v[64:67]// 000000005DBC: D3D70040 1D020130
	buffer_load_dwordx4 a[88:91], v43, s[24:27], 0 offen       // 000000005DC4: E05C1000 8086582B
	v_mfma_i32_16x16x32_i8 v[64:67], a[50:51], a[2:3], v[64:67]// 000000005DCC: D3D70040 1D020532
	v_mfma_i32_16x16x32_i8 v[64:67], a[52:53], a[4:5], v[64:67]// 000000005DD4: D3D70040 1D020934
	v_mfma_i32_16x16x32_i8 v[64:67], a[54:55], a[6:7], v[64:67]// 000000005DDC: D3D70040 1D020D36
	v_mfma_i32_16x16x32_i8 v[52:55], a[32:33], a[8:9], v[52:55]// 000000005DE4: D3D70034 1CD21120
	buffer_load_dwordx4 a[92:95], v43, s[24:27], 0 offen offset:1024// 000000005DEC: E05C1400 80865C2B
	v_mfma_i32_16x16x32_i8 v[52:55], a[34:35], a[10:11], v[52:55]// 000000005DF4: D3D70034 1CD21522
	v_mfma_i32_16x16x32_i8 v[52:55], a[36:37], a[12:13], v[52:55]// 000000005DFC: D3D70034 1CD21924
	v_mfma_i32_16x16x32_i8 v[52:55], a[38:39], a[14:15], v[52:55]// 000000005E04: D3D70034 1CD21D26
	v_mfma_i32_16x16x32_i8 v[60:63], a[40:41], a[8:9], v[60:63]// 000000005E0C: D3D7003C 1CF21128
	buffer_load_dwordx4 a[96:99], v44, s[24:27], 0 offen       // 000000005E14: E05C1000 8086602C
	v_mfma_i32_16x16x32_i8 v[60:63], a[42:43], a[10:11], v[60:63]// 000000005E1C: D3D7003C 1CF2152A
	v_mfma_i32_16x16x32_i8 v[60:63], a[44:45], a[12:13], v[60:63]// 000000005E24: D3D7003C 1CF2192C
	v_mfma_i32_16x16x32_i8 v[60:63], a[46:47], a[14:15], v[60:63]// 000000005E2C: D3D7003C 1CF21D2E
	v_mfma_i32_16x16x32_i8 v[68:71], a[48:49], a[8:9], v[68:71]// 000000005E34: D3D70044 1D121130
	buffer_load_dwordx4 a[100:103], v44, s[24:27], 0 offen offset:1024// 000000005E3C: E05C1400 8086642C
	buffer_load_dword v38, s[20:23], 0 offen lds               // 000000005E44: E0511000 80050026
	s_add_u32 m0, 0x100, s50                                   // 000000005E4C: 807C32FF 00000100
	v_mfma_i32_16x16x32_i8 v[68:71], a[50:51], a[10:11], v[68:71]// 000000005E54: D3D70044 1D121532
	v_mfma_i32_16x16x32_i8 v[68:71], a[52:53], a[12:13], v[68:71]// 000000005E5C: D3D70044 1D121934
	buffer_load_dword v39, s[20:23], 0 offen lds               // 000000005E64: E0511000 80050027
	s_add_u32 m0, 0x200, s50                                   // 000000005E6C: 807C32FF 00000200
	v_mfma_i32_16x16x32_i8 v[68:71], a[54:55], a[14:15], v[68:71]// 000000005E74: D3D70044 1D121D36
	buffer_load_dword v40, s[20:23], 0 offen lds               // 000000005E7C: E0511000 80050028
	s_add_u32 m0, 0x300, s50                                   // 000000005E84: 807C32FF 00000300
	buffer_load_dword v41, s[20:23], 0 offen lds               // 000000005E8C: E0511000 80050029
	s_add_u32 m0, 0, s48                                       // 000000005E94: 807C3080
	s_waitcnt vmcnt(10)                                        // 000000005E98: BF8C0F7A
	s_barrier                                                  // 000000005E9C: BF8A0000
	v_mfma_i32_16x16x32_i8 v[72:75], a[56:57], a[0:1], v[72:75]// 000000005EA0: D3D70048 1D220138
	buffer_load_dwordx4 a[32:35], v42, s[84:87], 0 offen       // 000000005EA8: E05C1000 8095202A
	v_mfma_i32_16x16x32_i8 v[72:75], a[58:59], a[2:3], v[72:75]// 000000005EB0: D3D70048 1D22053A
	v_mfma_i32_16x16x32_i8 v[72:75], a[60:61], a[4:5], v[72:75]// 000000005EB8: D3D70048 1D22093C
	ds_read_b128 a[16:19], v2 offset:4224                      // 000000005EC0: DBFE1080 10000002
	ds_read_b128 a[20:23], v2 offset:4288                      // 000000005EC8: DBFE10C0 14000002
	v_mfma_i32_16x16x32_i8 v[72:75], a[62:63], a[6:7], v[72:75]// 000000005ED0: D3D70048 1D220D3E
	v_mfma_i32_16x16x32_i8 v[80:83], a[64:65], a[0:1], v[80:83]// 000000005ED8: D3D70050 1D420140
	buffer_load_dwordx4 a[36:39], v42, s[84:87], 0 offen offset:1024// 000000005EE0: E05C1400 8095242A
	v_mfma_i32_16x16x32_i8 v[80:83], a[66:67], a[2:3], v[80:83]// 000000005EE8: D3D70050 1D420542
	v_mfma_i32_16x16x32_i8 v[80:83], a[68:69], a[4:5], v[80:83]// 000000005EF0: D3D70050 1D420944
	ds_read_b128 a[24:27], v2 offset:4736                      // 000000005EF8: DBFE1280 18000002
	ds_read_b128 a[28:31], v2 offset:4800                      // 000000005F00: DBFE12C0 1C000002
	v_mfma_i32_16x16x32_i8 v[80:83], a[70:71], a[6:7], v[80:83]// 000000005F08: D3D70050 1D420D46
	v_mfma_i32_16x16x32_i8 v[88:91], a[72:73], a[0:1], v[88:91]// 000000005F10: D3D70058 1D620148
	buffer_load_dwordx4 a[40:43], v43, s[84:87], 0 offen       // 000000005F18: E05C1000 8095282B
	v_mfma_i32_16x16x32_i8 v[88:91], a[74:75], a[2:3], v[88:91]// 000000005F20: D3D70058 1D62054A
	v_mfma_i32_16x16x32_i8 v[88:91], a[76:77], a[4:5], v[88:91]// 000000005F28: D3D70058 1D62094C
	v_mfma_i32_16x16x32_i8 v[88:91], a[78:79], a[6:7], v[88:91]// 000000005F30: D3D70058 1D620D4E
	v_mfma_i32_16x16x32_i8 v[76:79], a[56:57], a[8:9], v[76:79]// 000000005F38: D3D7004C 1D321138
	buffer_load_dwordx4 a[44:47], v43, s[84:87], 0 offen offset:1024// 000000005F40: E05C1400 80952C2B
	v_mfma_i32_16x16x32_i8 v[76:79], a[58:59], a[10:11], v[76:79]// 000000005F48: D3D7004C 1D32153A
	v_mfma_i32_16x16x32_i8 v[76:79], a[60:61], a[12:13], v[76:79]// 000000005F50: D3D7004C 1D32193C
	v_mfma_i32_16x16x32_i8 v[76:79], a[62:63], a[14:15], v[76:79]// 000000005F58: D3D7004C 1D321D3E
	v_mfma_i32_16x16x32_i8 v[84:87], a[64:65], a[8:9], v[84:87]// 000000005F60: D3D70054 1D521140
	buffer_load_dwordx4 a[48:51], v44, s[84:87], 0 offen       // 000000005F68: E05C1000 8095302C
	s_add_u32 s60, 0x180, s80                                  // 000000005F70: 803C50FF 00000180
	s_cmp_lt_u32 s60, s81                                      // 000000005F78: BF0A513C
	s_cselect_b32 s57, s57, 0                                  // 000000005F7C: 85398039
	v_mfma_i32_16x16x32_i8 v[84:87], a[66:67], a[10:11], v[84:87]// 000000005F80: D3D70054 1D521542
	s_add_u32 s60, 0x100, s80                                  // 000000005F88: 803C50FF 00000100
	s_cmp_lt_u32 s60, s81                                      // 000000005F90: BF0A513C
	s_cselect_b32 s58, s58, 0                                  // 000000005F94: 853A803A
	v_mfma_i32_16x16x32_i8 v[84:87], a[68:69], a[12:13], v[84:87]// 000000005F98: D3D70054 1D521944
	s_add_u32 s60, 0x100, s80                                  // 000000005FA0: 803C50FF 00000100
	s_cmp_lt_u32 s60, s81                                      // 000000005FA8: BF0A513C
	s_cselect_b32 s83, s83, 0                                  // 000000005FAC: 85538053
	v_mfma_i32_16x16x32_i8 v[84:87], a[70:71], a[14:15], v[84:87]// 000000005FB0: D3D70054 1D521D46
	s_add_u32 s24, s58, s24                                    // 000000005FB8: 8018183A
	s_addc_u32 s25, 0, s25                                     // 000000005FBC: 82191980
	v_mfma_i32_16x16x32_i8 v[92:95], a[72:73], a[8:9], v[92:95]// 000000005FC0: D3D7005C 1D721148
	buffer_load_dwordx4 a[52:55], v44, s[84:87], 0 offen offset:1024// 000000005FC8: E05C1400 8095342C
	s_add_u32 s20, s57, s20                                    // 000000005FD0: 80141439
	s_addc_u32 s21, 0, s21                                     // 000000005FD4: 82151580
	v_mfma_i32_16x16x32_i8 v[92:95], a[74:75], a[10:11], v[92:95]// 000000005FD8: D3D7005C 1D72154A
	s_add_u32 s84, s83, s84                                    // 000000005FE0: 80545453
	s_addc_u32 s85, 0, s85                                     // 000000005FE4: 82555580
	v_mfma_i32_16x16x32_i8 v[92:95], a[76:77], a[12:13], v[92:95]// 000000005FE8: D3D7005C 1D72194C
	v_mfma_i32_16x16x32_i8 v[92:95], a[78:79], a[14:15], v[92:95]// 000000005FF0: D3D7005C 1D721D4E
	s_addk_i32 s80, 0x80                                       // 000000005FF8: B7500080
	s_cmp_lt_i32 s80, s81                                      // 000000005FFC: BF045150
	s_cbranch_scc0 label_1048                                  // 000000006000: BF840344
	s_waitcnt vmcnt(10) lgkmcnt(0)                             // 000000006004: BF8C007A
	v_mfma_i32_16x16x32_i8 v[48:51], a[80:81], a[16:17], v[48:51]// 000000006008: D3D70030 1CC22150
	buffer_load_dwordx4 a[56:59], v42, s[24:27], 0 offen       // 000000006010: E05C1000 8086382A
	v_mfma_i32_16x16x32_i8 v[48:51], a[82:83], a[18:19], v[48:51]// 000000006018: D3D70030 1CC22552
	v_mfma_i32_16x16x32_i8 v[48:51], a[84:85], a[20:21], v[48:51]// 000000006020: D3D70030 1CC22954
	v_mfma_i32_16x16x32_i8 v[48:51], a[86:87], a[22:23], v[48:51]// 000000006028: D3D70030 1CC22D56
	v_mfma_i32_16x16x32_i8 v[56:59], a[88:89], a[16:17], v[56:59]// 000000006030: D3D70038 1CE22158
	buffer_load_dwordx4 a[60:63], v42, s[24:27], 0 offen offset:1024// 000000006038: E05C1400 80863C2A
	v_mfma_i32_16x16x32_i8 v[56:59], a[90:91], a[18:19], v[56:59]// 000000006040: D3D70038 1CE2255A
	v_mfma_i32_16x16x32_i8 v[56:59], a[92:93], a[20:21], v[56:59]// 000000006048: D3D70038 1CE2295C
	v_mfma_i32_16x16x32_i8 v[56:59], a[94:95], a[22:23], v[56:59]// 000000006050: D3D70038 1CE22D5E
	v_mfma_i32_16x16x32_i8 v[64:67], a[96:97], a[16:17], v[64:67]// 000000006058: D3D70040 1D022160
	buffer_load_dwordx4 a[64:67], v43, s[24:27], 0 offen       // 000000006060: E05C1000 8086402B
	v_mfma_i32_16x16x32_i8 v[64:67], a[98:99], a[18:19], v[64:67]// 000000006068: D3D70040 1D022562
	v_mfma_i32_16x16x32_i8 v[64:67], a[100:101], a[20:21], v[64:67]// 000000006070: D3D70040 1D022964
	v_mfma_i32_16x16x32_i8 v[64:67], a[102:103], a[22:23], v[64:67]// 000000006078: D3D70040 1D022D66
	v_mfma_i32_16x16x32_i8 v[52:55], a[80:81], a[24:25], v[52:55]// 000000006080: D3D70034 1CD23150
	buffer_load_dwordx4 a[68:71], v43, s[24:27], 0 offen offset:1024// 000000006088: E05C1400 8086442B
	v_mfma_i32_16x16x32_i8 v[52:55], a[82:83], a[26:27], v[52:55]// 000000006090: D3D70034 1CD23552
	v_mfma_i32_16x16x32_i8 v[52:55], a[84:85], a[28:29], v[52:55]// 000000006098: D3D70034 1CD23954
	v_mfma_i32_16x16x32_i8 v[52:55], a[86:87], a[30:31], v[52:55]// 0000000060A0: D3D70034 1CD23D56
	v_mfma_i32_16x16x32_i8 v[60:63], a[88:89], a[24:25], v[60:63]// 0000000060A8: D3D7003C 1CF23158
	buffer_load_dwordx4 a[72:75], v44, s[24:27], 0 offen       // 0000000060B0: E05C1000 8086482C
	v_mfma_i32_16x16x32_i8 v[60:63], a[90:91], a[26:27], v[60:63]// 0000000060B8: D3D7003C 1CF2355A
	v_mfma_i32_16x16x32_i8 v[60:63], a[92:93], a[28:29], v[60:63]// 0000000060C0: D3D7003C 1CF2395C
	v_mfma_i32_16x16x32_i8 v[60:63], a[94:95], a[30:31], v[60:63]// 0000000060C8: D3D7003C 1CF23D5E
	v_mfma_i32_16x16x32_i8 v[68:71], a[96:97], a[24:25], v[68:71]// 0000000060D0: D3D70044 1D123160
	buffer_load_dwordx4 a[76:79], v44, s[24:27], 0 offen offset:1024// 0000000060D8: E05C1400 80864C2C
	buffer_load_dword v38, s[20:23], 0 offen lds               // 0000000060E0: E0511000 80050026
	s_add_u32 m0, 0x100, s48                                   // 0000000060E8: 807C30FF 00000100
	v_mfma_i32_16x16x32_i8 v[68:71], a[98:99], a[26:27], v[68:71]// 0000000060F0: D3D70044 1D123562
	v_mfma_i32_16x16x32_i8 v[68:71], a[100:101], a[28:29], v[68:71]// 0000000060F8: D3D70044 1D123964
	buffer_load_dword v39, s[20:23], 0 offen lds               // 000000006100: E0511000 80050027
	s_add_u32 m0, 0x200, s48                                   // 000000006108: 807C30FF 00000200
	v_mfma_i32_16x16x32_i8 v[68:71], a[102:103], a[30:31], v[68:71]// 000000006110: D3D70044 1D123D66
	buffer_load_dword v40, s[20:23], 0 offen lds               // 000000006118: E0511000 80050028
	s_add_u32 m0, 0x300, s48                                   // 000000006120: 807C30FF 00000300
	buffer_load_dword v41, s[20:23], 0 offen lds               // 000000006128: E0511000 80050029
	s_add_u32 m0, 0, s49                                       // 000000006130: 807C3180
	s_waitcnt vmcnt(10)                                        // 000000006134: BF8C0F7A
	s_barrier                                                  // 000000006138: BF8A0000
	v_mfma_i32_16x16x32_i8 v[72:75], a[32:33], a[16:17], v[72:75]// 00000000613C: D3D70048 1D222120
	buffer_load_dwordx4 a[80:83], v42, s[84:87], 0 offen       // 000000006144: E05C1000 8095502A
	v_mfma_i32_16x16x32_i8 v[72:75], a[34:35], a[18:19], v[72:75]// 00000000614C: D3D70048 1D222522
	v_mfma_i32_16x16x32_i8 v[72:75], a[36:37], a[20:21], v[72:75]// 000000006154: D3D70048 1D222924
	ds_read_b128 a[0:3], v2 offset:8448                        // 00000000615C: DBFE2100 00000002
	ds_read_b128 a[4:7], v2 offset:8512                        // 000000006164: DBFE2140 04000002
	v_mfma_i32_16x16x32_i8 v[72:75], a[38:39], a[22:23], v[72:75]// 00000000616C: D3D70048 1D222D26
	v_mfma_i32_16x16x32_i8 v[80:83], a[40:41], a[16:17], v[80:83]// 000000006174: D3D70050 1D422128
	buffer_load_dwordx4 a[84:87], v42, s[84:87], 0 offen offset:1024// 00000000617C: E05C1400 8095542A
	v_mfma_i32_16x16x32_i8 v[80:83], a[42:43], a[18:19], v[80:83]// 000000006184: D3D70050 1D42252A
	v_mfma_i32_16x16x32_i8 v[80:83], a[44:45], a[20:21], v[80:83]// 00000000618C: D3D70050 1D42292C
	ds_read_b128 a[8:11], v2 offset:8960                       // 000000006194: DBFE2300 08000002
	ds_read_b128 a[12:15], v2 offset:9024                      // 00000000619C: DBFE2340 0C000002
	v_mfma_i32_16x16x32_i8 v[80:83], a[46:47], a[22:23], v[80:83]// 0000000061A4: D3D70050 1D422D2E
	v_mfma_i32_16x16x32_i8 v[88:91], a[48:49], a[16:17], v[88:91]// 0000000061AC: D3D70058 1D622130
	buffer_load_dwordx4 a[88:91], v43, s[84:87], 0 offen       // 0000000061B4: E05C1000 8095582B
	v_mfma_i32_16x16x32_i8 v[88:91], a[50:51], a[18:19], v[88:91]// 0000000061BC: D3D70058 1D622532
	v_mfma_i32_16x16x32_i8 v[88:91], a[52:53], a[20:21], v[88:91]// 0000000061C4: D3D70058 1D622934
	v_mfma_i32_16x16x32_i8 v[88:91], a[54:55], a[22:23], v[88:91]// 0000000061CC: D3D70058 1D622D36
	v_mfma_i32_16x16x32_i8 v[76:79], a[32:33], a[24:25], v[76:79]// 0000000061D4: D3D7004C 1D323120
	buffer_load_dwordx4 a[92:95], v43, s[84:87], 0 offen offset:1024// 0000000061DC: E05C1400 80955C2B
	v_mfma_i32_16x16x32_i8 v[76:79], a[34:35], a[26:27], v[76:79]// 0000000061E4: D3D7004C 1D323522
	v_mfma_i32_16x16x32_i8 v[76:79], a[36:37], a[28:29], v[76:79]// 0000000061EC: D3D7004C 1D323924
	v_mfma_i32_16x16x32_i8 v[76:79], a[38:39], a[30:31], v[76:79]// 0000000061F4: D3D7004C 1D323D26
	v_mfma_i32_16x16x32_i8 v[84:87], a[40:41], a[24:25], v[84:87]// 0000000061FC: D3D70054 1D523128
	buffer_load_dwordx4 a[96:99], v44, s[84:87], 0 offen       // 000000006204: E05C1000 8095602C
	s_add_u32 s60, 0x180, s80                                  // 00000000620C: 803C50FF 00000180
	s_cmp_lt_u32 s60, s81                                      // 000000006214: BF0A513C
	s_cselect_b32 s57, s57, 0                                  // 000000006218: 85398039
	v_mfma_i32_16x16x32_i8 v[84:87], a[42:43], a[26:27], v[84:87]// 00000000621C: D3D70054 1D52352A
	s_add_u32 s60, 0x100, s80                                  // 000000006224: 803C50FF 00000100
	s_cmp_lt_u32 s60, s81                                      // 00000000622C: BF0A513C
	s_cselect_b32 s58, s58, 0                                  // 000000006230: 853A803A
	v_mfma_i32_16x16x32_i8 v[84:87], a[44:45], a[28:29], v[84:87]// 000000006234: D3D70054 1D52392C
	s_add_u32 s60, 0x100, s80                                  // 00000000623C: 803C50FF 00000100
	s_cmp_lt_u32 s60, s81                                      // 000000006244: BF0A513C
	s_cselect_b32 s83, s83, 0                                  // 000000006248: 85538053
	v_mfma_i32_16x16x32_i8 v[84:87], a[46:47], a[30:31], v[84:87]// 00000000624C: D3D70054 1D523D2E
	s_add_u32 s24, s58, s24                                    // 000000006254: 8018183A
	s_addc_u32 s25, 0, s25                                     // 000000006258: 82191980
	v_mfma_i32_16x16x32_i8 v[92:95], a[48:49], a[24:25], v[92:95]// 00000000625C: D3D7005C 1D723130
	buffer_load_dwordx4 a[100:103], v44, s[84:87], 0 offen offset:1024// 000000006264: E05C1400 8095642C
	s_add_u32 s20, s57, s20                                    // 00000000626C: 80141439
	s_addc_u32 s21, 0, s21                                     // 000000006270: 82151580
	v_mfma_i32_16x16x32_i8 v[92:95], a[50:51], a[26:27], v[92:95]// 000000006274: D3D7005C 1D723532
	s_add_u32 s84, s83, s84                                    // 00000000627C: 80545453
	s_addc_u32 s85, 0, s85                                     // 000000006280: 82555580
	v_mfma_i32_16x16x32_i8 v[92:95], a[52:53], a[28:29], v[92:95]// 000000006284: D3D7005C 1D723934
	v_mfma_i32_16x16x32_i8 v[92:95], a[54:55], a[30:31], v[92:95]// 00000000628C: D3D7005C 1D723D36
	s_addk_i32 s80, 0x80                                       // 000000006294: B7500080
	s_cmp_lt_i32 s80, s81                                      // 000000006298: BF045150
	s_cbranch_scc0 label_1048                                  // 00000000629C: BF84029D
	s_waitcnt vmcnt(10) lgkmcnt(0)                             // 0000000062A0: BF8C007A
	v_mfma_i32_16x16x32_i8 v[48:51], a[56:57], a[0:1], v[48:51]// 0000000062A4: D3D70030 1CC20138
	buffer_load_dwordx4 a[32:35], v42, s[24:27], 0 offen       // 0000000062AC: E05C1000 8086202A
	v_mfma_i32_16x16x32_i8 v[48:51], a[58:59], a[2:3], v[48:51]// 0000000062B4: D3D70030 1CC2053A
	v_mfma_i32_16x16x32_i8 v[48:51], a[60:61], a[4:5], v[48:51]// 0000000062BC: D3D70030 1CC2093C
	v_mfma_i32_16x16x32_i8 v[48:51], a[62:63], a[6:7], v[48:51]// 0000000062C4: D3D70030 1CC20D3E
	v_mfma_i32_16x16x32_i8 v[56:59], a[64:65], a[0:1], v[56:59]// 0000000062CC: D3D70038 1CE20140
	buffer_load_dwordx4 a[36:39], v42, s[24:27], 0 offen offset:1024// 0000000062D4: E05C1400 8086242A
	v_mfma_i32_16x16x32_i8 v[56:59], a[66:67], a[2:3], v[56:59]// 0000000062DC: D3D70038 1CE20542
	v_mfma_i32_16x16x32_i8 v[56:59], a[68:69], a[4:5], v[56:59]// 0000000062E4: D3D70038 1CE20944
	v_mfma_i32_16x16x32_i8 v[56:59], a[70:71], a[6:7], v[56:59]// 0000000062EC: D3D70038 1CE20D46
	v_mfma_i32_16x16x32_i8 v[64:67], a[72:73], a[0:1], v[64:67]// 0000000062F4: D3D70040 1D020148
	buffer_load_dwordx4 a[40:43], v43, s[24:27], 0 offen       // 0000000062FC: E05C1000 8086282B
	v_mfma_i32_16x16x32_i8 v[64:67], a[74:75], a[2:3], v[64:67]// 000000006304: D3D70040 1D02054A
	v_mfma_i32_16x16x32_i8 v[64:67], a[76:77], a[4:5], v[64:67]// 00000000630C: D3D70040 1D02094C
	v_mfma_i32_16x16x32_i8 v[64:67], a[78:79], a[6:7], v[64:67]// 000000006314: D3D70040 1D020D4E
	v_mfma_i32_16x16x32_i8 v[52:55], a[56:57], a[8:9], v[52:55]// 00000000631C: D3D70034 1CD21138
	buffer_load_dwordx4 a[44:47], v43, s[24:27], 0 offen offset:1024// 000000006324: E05C1400 80862C2B
	v_mfma_i32_16x16x32_i8 v[52:55], a[58:59], a[10:11], v[52:55]// 00000000632C: D3D70034 1CD2153A
	v_mfma_i32_16x16x32_i8 v[52:55], a[60:61], a[12:13], v[52:55]// 000000006334: D3D70034 1CD2193C
	v_mfma_i32_16x16x32_i8 v[52:55], a[62:63], a[14:15], v[52:55]// 00000000633C: D3D70034 1CD21D3E
	v_mfma_i32_16x16x32_i8 v[60:63], a[64:65], a[8:9], v[60:63]// 000000006344: D3D7003C 1CF21140
	buffer_load_dwordx4 a[48:51], v44, s[24:27], 0 offen       // 00000000634C: E05C1000 8086302C
	v_mfma_i32_16x16x32_i8 v[60:63], a[66:67], a[10:11], v[60:63]// 000000006354: D3D7003C 1CF21542
	v_mfma_i32_16x16x32_i8 v[60:63], a[68:69], a[12:13], v[60:63]// 00000000635C: D3D7003C 1CF21944
	v_mfma_i32_16x16x32_i8 v[60:63], a[70:71], a[14:15], v[60:63]// 000000006364: D3D7003C 1CF21D46
	v_mfma_i32_16x16x32_i8 v[68:71], a[72:73], a[8:9], v[68:71]// 00000000636C: D3D70044 1D121148
	buffer_load_dwordx4 a[52:55], v44, s[24:27], 0 offen offset:1024// 000000006374: E05C1400 8086342C
	buffer_load_dword v38, s[20:23], 0 offen lds               // 00000000637C: E0511000 80050026
	s_add_u32 m0, 0x100, s49                                   // 000000006384: 807C31FF 00000100
	v_mfma_i32_16x16x32_i8 v[68:71], a[74:75], a[10:11], v[68:71]// 00000000638C: D3D70044 1D12154A
	v_mfma_i32_16x16x32_i8 v[68:71], a[76:77], a[12:13], v[68:71]// 000000006394: D3D70044 1D12194C
	buffer_load_dword v39, s[20:23], 0 offen lds               // 00000000639C: E0511000 80050027
	s_add_u32 m0, 0x200, s49                                   // 0000000063A4: 807C31FF 00000200
	v_mfma_i32_16x16x32_i8 v[68:71], a[78:79], a[14:15], v[68:71]// 0000000063AC: D3D70044 1D121D4E
	buffer_load_dword v40, s[20:23], 0 offen lds               // 0000000063B4: E0511000 80050028
	s_add_u32 m0, 0x300, s49                                   // 0000000063BC: 807C31FF 00000300
	buffer_load_dword v41, s[20:23], 0 offen lds               // 0000000063C4: E0511000 80050029
	s_add_u32 m0, 0, s50                                       // 0000000063CC: 807C3280
	s_waitcnt vmcnt(10)                                        // 0000000063D0: BF8C0F7A
	s_barrier                                                  // 0000000063D4: BF8A0000
	v_mfma_i32_16x16x32_i8 v[72:75], a[80:81], a[0:1], v[72:75]// 0000000063D8: D3D70048 1D220150
	buffer_load_dwordx4 a[56:59], v42, s[84:87], 0 offen       // 0000000063E0: E05C1000 8095382A
	v_mfma_i32_16x16x32_i8 v[72:75], a[82:83], a[2:3], v[72:75]// 0000000063E8: D3D70048 1D220552
	v_mfma_i32_16x16x32_i8 v[72:75], a[84:85], a[4:5], v[72:75]// 0000000063F0: D3D70048 1D220954
	ds_read_b128 a[16:19], v2                                  // 0000000063F8: DBFE0000 10000002
	ds_read_b128 a[20:23], v2 offset:64                        // 000000006400: DBFE0040 14000002
	v_mfma_i32_16x16x32_i8 v[72:75], a[86:87], a[6:7], v[72:75]// 000000006408: D3D70048 1D220D56
	v_mfma_i32_16x16x32_i8 v[80:83], a[88:89], a[0:1], v[80:83]// 000000006410: D3D70050 1D420158
	buffer_load_dwordx4 a[60:63], v42, s[84:87], 0 offen offset:1024// 000000006418: E05C1400 80953C2A
	v_mfma_i32_16x16x32_i8 v[80:83], a[90:91], a[2:3], v[80:83]// 000000006420: D3D70050 1D42055A
	v_mfma_i32_16x16x32_i8 v[80:83], a[92:93], a[4:5], v[80:83]// 000000006428: D3D70050 1D42095C
	ds_read_b128 a[24:27], v2 offset:512                       // 000000006430: DBFE0200 18000002
	ds_read_b128 a[28:31], v2 offset:576                       // 000000006438: DBFE0240 1C000002
	v_mfma_i32_16x16x32_i8 v[80:83], a[94:95], a[6:7], v[80:83]// 000000006440: D3D70050 1D420D5E
	v_mfma_i32_16x16x32_i8 v[88:91], a[96:97], a[0:1], v[88:91]// 000000006448: D3D70058 1D620160
	buffer_load_dwordx4 a[64:67], v43, s[84:87], 0 offen       // 000000006450: E05C1000 8095402B
	v_mfma_i32_16x16x32_i8 v[88:91], a[98:99], a[2:3], v[88:91]// 000000006458: D3D70058 1D620562
	v_mfma_i32_16x16x32_i8 v[88:91], a[100:101], a[4:5], v[88:91]// 000000006460: D3D70058 1D620964
	v_mfma_i32_16x16x32_i8 v[88:91], a[102:103], a[6:7], v[88:91]// 000000006468: D3D70058 1D620D66
	v_mfma_i32_16x16x32_i8 v[76:79], a[80:81], a[8:9], v[76:79]// 000000006470: D3D7004C 1D321150
	buffer_load_dwordx4 a[68:71], v43, s[84:87], 0 offen offset:1024// 000000006478: E05C1400 8095442B
	v_mfma_i32_16x16x32_i8 v[76:79], a[82:83], a[10:11], v[76:79]// 000000006480: D3D7004C 1D321552
	v_mfma_i32_16x16x32_i8 v[76:79], a[84:85], a[12:13], v[76:79]// 000000006488: D3D7004C 1D321954
	v_mfma_i32_16x16x32_i8 v[76:79], a[86:87], a[14:15], v[76:79]// 000000006490: D3D7004C 1D321D56
	v_mfma_i32_16x16x32_i8 v[84:87], a[88:89], a[8:9], v[84:87]// 000000006498: D3D70054 1D521158
	buffer_load_dwordx4 a[72:75], v44, s[84:87], 0 offen       // 0000000064A0: E05C1000 8095482C
	s_add_u32 s60, 0x180, s80                                  // 0000000064A8: 803C50FF 00000180
	s_cmp_lt_u32 s60, s81                                      // 0000000064B0: BF0A513C
	s_cselect_b32 s57, s57, 0                                  // 0000000064B4: 85398039
	v_mfma_i32_16x16x32_i8 v[84:87], a[90:91], a[10:11], v[84:87]// 0000000064B8: D3D70054 1D52155A
	s_add_u32 s60, 0x100, s80                                  // 0000000064C0: 803C50FF 00000100
	s_cmp_lt_u32 s60, s81                                      // 0000000064C8: BF0A513C
	s_cselect_b32 s58, s58, 0                                  // 0000000064CC: 853A803A
	v_mfma_i32_16x16x32_i8 v[84:87], a[92:93], a[12:13], v[84:87]// 0000000064D0: D3D70054 1D52195C
	s_add_u32 s60, 0x100, s80                                  // 0000000064D8: 803C50FF 00000100
	s_cmp_lt_u32 s60, s81                                      // 0000000064E0: BF0A513C
	s_cselect_b32 s83, s83, 0                                  // 0000000064E4: 85538053
	v_mfma_i32_16x16x32_i8 v[84:87], a[94:95], a[14:15], v[84:87]// 0000000064E8: D3D70054 1D521D5E
	s_add_u32 s24, s58, s24                                    // 0000000064F0: 8018183A
	s_addc_u32 s25, 0, s25                                     // 0000000064F4: 82191980
	v_mfma_i32_16x16x32_i8 v[92:95], a[96:97], a[8:9], v[92:95]// 0000000064F8: D3D7005C 1D721160
	buffer_load_dwordx4 a[76:79], v44, s[84:87], 0 offen offset:1024// 000000006500: E05C1400 80954C2C
	s_add_u32 s20, s57, s20                                    // 000000006508: 80141439
	s_addc_u32 s21, 0, s21                                     // 00000000650C: 82151580
	v_mfma_i32_16x16x32_i8 v[92:95], a[98:99], a[10:11], v[92:95]// 000000006510: D3D7005C 1D721562
	s_add_u32 s84, s83, s84                                    // 000000006518: 80545453
	s_addc_u32 s85, 0, s85                                     // 00000000651C: 82555580
	v_mfma_i32_16x16x32_i8 v[92:95], a[100:101], a[12:13], v[92:95]// 000000006520: D3D7005C 1D721964
	v_mfma_i32_16x16x32_i8 v[92:95], a[102:103], a[14:15], v[92:95]// 000000006528: D3D7005C 1D721D66
	s_addk_i32 s80, 0x80                                       // 000000006530: B7500080
	s_cmp_lt_i32 s80, s81                                      // 000000006534: BF045150
	s_cbranch_scc0 label_1048                                  // 000000006538: BF8401F6
	s_waitcnt vmcnt(10) lgkmcnt(0)                             // 00000000653C: BF8C007A
	v_mfma_i32_16x16x32_i8 v[48:51], a[32:33], a[16:17], v[48:51]// 000000006540: D3D70030 1CC22120
	buffer_load_dwordx4 a[80:83], v42, s[24:27], 0 offen       // 000000006548: E05C1000 8086502A
	v_mfma_i32_16x16x32_i8 v[48:51], a[34:35], a[18:19], v[48:51]// 000000006550: D3D70030 1CC22522
	v_mfma_i32_16x16x32_i8 v[48:51], a[36:37], a[20:21], v[48:51]// 000000006558: D3D70030 1CC22924
	v_mfma_i32_16x16x32_i8 v[48:51], a[38:39], a[22:23], v[48:51]// 000000006560: D3D70030 1CC22D26
	v_mfma_i32_16x16x32_i8 v[56:59], a[40:41], a[16:17], v[56:59]// 000000006568: D3D70038 1CE22128
	buffer_load_dwordx4 a[84:87], v42, s[24:27], 0 offen offset:1024// 000000006570: E05C1400 8086542A
	v_mfma_i32_16x16x32_i8 v[56:59], a[42:43], a[18:19], v[56:59]// 000000006578: D3D70038 1CE2252A
	v_mfma_i32_16x16x32_i8 v[56:59], a[44:45], a[20:21], v[56:59]// 000000006580: D3D70038 1CE2292C
	v_mfma_i32_16x16x32_i8 v[56:59], a[46:47], a[22:23], v[56:59]// 000000006588: D3D70038 1CE22D2E
	v_mfma_i32_16x16x32_i8 v[64:67], a[48:49], a[16:17], v[64:67]// 000000006590: D3D70040 1D022130
	buffer_load_dwordx4 a[88:91], v43, s[24:27], 0 offen       // 000000006598: E05C1000 8086582B
	v_mfma_i32_16x16x32_i8 v[64:67], a[50:51], a[18:19], v[64:67]// 0000000065A0: D3D70040 1D022532
	v_mfma_i32_16x16x32_i8 v[64:67], a[52:53], a[20:21], v[64:67]// 0000000065A8: D3D70040 1D022934
	v_mfma_i32_16x16x32_i8 v[64:67], a[54:55], a[22:23], v[64:67]// 0000000065B0: D3D70040 1D022D36
	v_mfma_i32_16x16x32_i8 v[52:55], a[32:33], a[24:25], v[52:55]// 0000000065B8: D3D70034 1CD23120
	buffer_load_dwordx4 a[92:95], v43, s[24:27], 0 offen offset:1024// 0000000065C0: E05C1400 80865C2B
	v_mfma_i32_16x16x32_i8 v[52:55], a[34:35], a[26:27], v[52:55]// 0000000065C8: D3D70034 1CD23522
	v_mfma_i32_16x16x32_i8 v[52:55], a[36:37], a[28:29], v[52:55]// 0000000065D0: D3D70034 1CD23924
	v_mfma_i32_16x16x32_i8 v[52:55], a[38:39], a[30:31], v[52:55]// 0000000065D8: D3D70034 1CD23D26
	v_mfma_i32_16x16x32_i8 v[60:63], a[40:41], a[24:25], v[60:63]// 0000000065E0: D3D7003C 1CF23128
	buffer_load_dwordx4 a[96:99], v44, s[24:27], 0 offen       // 0000000065E8: E05C1000 8086602C
	v_mfma_i32_16x16x32_i8 v[60:63], a[42:43], a[26:27], v[60:63]// 0000000065F0: D3D7003C 1CF2352A
	v_mfma_i32_16x16x32_i8 v[60:63], a[44:45], a[28:29], v[60:63]// 0000000065F8: D3D7003C 1CF2392C
	v_mfma_i32_16x16x32_i8 v[60:63], a[46:47], a[30:31], v[60:63]// 000000006600: D3D7003C 1CF23D2E
	v_mfma_i32_16x16x32_i8 v[68:71], a[48:49], a[24:25], v[68:71]// 000000006608: D3D70044 1D123130
	buffer_load_dwordx4 a[100:103], v44, s[24:27], 0 offen offset:1024// 000000006610: E05C1400 8086642C
	buffer_load_dword v38, s[20:23], 0 offen lds               // 000000006618: E0511000 80050026
	s_add_u32 m0, 0x100, s50                                   // 000000006620: 807C32FF 00000100
	v_mfma_i32_16x16x32_i8 v[68:71], a[50:51], a[26:27], v[68:71]// 000000006628: D3D70044 1D123532
	v_mfma_i32_16x16x32_i8 v[68:71], a[52:53], a[28:29], v[68:71]// 000000006630: D3D70044 1D123934
	buffer_load_dword v39, s[20:23], 0 offen lds               // 000000006638: E0511000 80050027
	s_add_u32 m0, 0x200, s50                                   // 000000006640: 807C32FF 00000200
	v_mfma_i32_16x16x32_i8 v[68:71], a[54:55], a[30:31], v[68:71]// 000000006648: D3D70044 1D123D36
	buffer_load_dword v40, s[20:23], 0 offen lds               // 000000006650: E0511000 80050028
	s_add_u32 m0, 0x300, s50                                   // 000000006658: 807C32FF 00000300
	buffer_load_dword v41, s[20:23], 0 offen lds               // 000000006660: E0511000 80050029
	s_add_u32 m0, 0, s48                                       // 000000006668: 807C3080
	s_waitcnt vmcnt(10)                                        // 00000000666C: BF8C0F7A
	s_barrier                                                  // 000000006670: BF8A0000
	v_mfma_i32_16x16x32_i8 v[72:75], a[56:57], a[16:17], v[72:75]// 000000006674: D3D70048 1D222138
	buffer_load_dwordx4 a[32:35], v42, s[84:87], 0 offen       // 00000000667C: E05C1000 8095202A
	v_mfma_i32_16x16x32_i8 v[72:75], a[58:59], a[18:19], v[72:75]// 000000006684: D3D70048 1D22253A
	v_mfma_i32_16x16x32_i8 v[72:75], a[60:61], a[20:21], v[72:75]// 00000000668C: D3D70048 1D22293C
	ds_read_b128 a[0:3], v2 offset:4224                        // 000000006694: DBFE1080 00000002
	ds_read_b128 a[4:7], v2 offset:4288                        // 00000000669C: DBFE10C0 04000002
	v_mfma_i32_16x16x32_i8 v[72:75], a[62:63], a[22:23], v[72:75]// 0000000066A4: D3D70048 1D222D3E
	v_mfma_i32_16x16x32_i8 v[80:83], a[64:65], a[16:17], v[80:83]// 0000000066AC: D3D70050 1D422140
	buffer_load_dwordx4 a[36:39], v42, s[84:87], 0 offen offset:1024// 0000000066B4: E05C1400 8095242A
	v_mfma_i32_16x16x32_i8 v[80:83], a[66:67], a[18:19], v[80:83]// 0000000066BC: D3D70050 1D422542
	v_mfma_i32_16x16x32_i8 v[80:83], a[68:69], a[20:21], v[80:83]// 0000000066C4: D3D70050 1D422944
	ds_read_b128 a[8:11], v2 offset:4736                       // 0000000066CC: DBFE1280 08000002
	ds_read_b128 a[12:15], v2 offset:4800                      // 0000000066D4: DBFE12C0 0C000002
	v_mfma_i32_16x16x32_i8 v[80:83], a[70:71], a[22:23], v[80:83]// 0000000066DC: D3D70050 1D422D46
	v_mfma_i32_16x16x32_i8 v[88:91], a[72:73], a[16:17], v[88:91]// 0000000066E4: D3D70058 1D622148
	buffer_load_dwordx4 a[40:43], v43, s[84:87], 0 offen       // 0000000066EC: E05C1000 8095282B
	v_mfma_i32_16x16x32_i8 v[88:91], a[74:75], a[18:19], v[88:91]// 0000000066F4: D3D70058 1D62254A
	v_mfma_i32_16x16x32_i8 v[88:91], a[76:77], a[20:21], v[88:91]// 0000000066FC: D3D70058 1D62294C
	v_mfma_i32_16x16x32_i8 v[88:91], a[78:79], a[22:23], v[88:91]// 000000006704: D3D70058 1D622D4E
	v_mfma_i32_16x16x32_i8 v[76:79], a[56:57], a[24:25], v[76:79]// 00000000670C: D3D7004C 1D323138
	buffer_load_dwordx4 a[44:47], v43, s[84:87], 0 offen offset:1024// 000000006714: E05C1400 80952C2B
	v_mfma_i32_16x16x32_i8 v[76:79], a[58:59], a[26:27], v[76:79]// 00000000671C: D3D7004C 1D32353A
	v_mfma_i32_16x16x32_i8 v[76:79], a[60:61], a[28:29], v[76:79]// 000000006724: D3D7004C 1D32393C
	v_mfma_i32_16x16x32_i8 v[76:79], a[62:63], a[30:31], v[76:79]// 00000000672C: D3D7004C 1D323D3E
	v_mfma_i32_16x16x32_i8 v[84:87], a[64:65], a[24:25], v[84:87]// 000000006734: D3D70054 1D523140
	buffer_load_dwordx4 a[48:51], v44, s[84:87], 0 offen       // 00000000673C: E05C1000 8095302C
	s_add_u32 s60, 0x180, s80                                  // 000000006744: 803C50FF 00000180
	s_cmp_lt_u32 s60, s81                                      // 00000000674C: BF0A513C
	s_cselect_b32 s57, s57, 0                                  // 000000006750: 85398039
	v_mfma_i32_16x16x32_i8 v[84:87], a[66:67], a[26:27], v[84:87]// 000000006754: D3D70054 1D523542
	s_add_u32 s60, 0x100, s80                                  // 00000000675C: 803C50FF 00000100
	s_cmp_lt_u32 s60, s81                                      // 000000006764: BF0A513C
	s_cselect_b32 s58, s58, 0                                  // 000000006768: 853A803A
	v_mfma_i32_16x16x32_i8 v[84:87], a[68:69], a[28:29], v[84:87]// 00000000676C: D3D70054 1D523944
	s_add_u32 s60, 0x100, s80                                  // 000000006774: 803C50FF 00000100
	s_cmp_lt_u32 s60, s81                                      // 00000000677C: BF0A513C
	s_cselect_b32 s83, s83, 0                                  // 000000006780: 85538053
	v_mfma_i32_16x16x32_i8 v[84:87], a[70:71], a[30:31], v[84:87]// 000000006784: D3D70054 1D523D46
	s_add_u32 s24, s58, s24                                    // 00000000678C: 8018183A
	s_addc_u32 s25, 0, s25                                     // 000000006790: 82191980
	v_mfma_i32_16x16x32_i8 v[92:95], a[72:73], a[24:25], v[92:95]// 000000006794: D3D7005C 1D723148
	buffer_load_dwordx4 a[52:55], v44, s[84:87], 0 offen offset:1024// 00000000679C: E05C1400 8095342C
	s_add_u32 s20, s57, s20                                    // 0000000067A4: 80141439
	s_addc_u32 s21, 0, s21                                     // 0000000067A8: 82151580
	v_mfma_i32_16x16x32_i8 v[92:95], a[74:75], a[26:27], v[92:95]// 0000000067AC: D3D7005C 1D72354A
	s_add_u32 s84, s83, s84                                    // 0000000067B4: 80545453
	s_addc_u32 s85, 0, s85                                     // 0000000067B8: 82555580
	v_mfma_i32_16x16x32_i8 v[92:95], a[76:77], a[28:29], v[92:95]// 0000000067BC: D3D7005C 1D72394C
	v_mfma_i32_16x16x32_i8 v[92:95], a[78:79], a[30:31], v[92:95]// 0000000067C4: D3D7005C 1D723D4E
	s_addk_i32 s80, 0x80                                       // 0000000067CC: B7500080
	s_cmp_lt_i32 s80, s81                                      // 0000000067D0: BF045150
	s_cbranch_scc0 label_1048                                  // 0000000067D4: BF84014F
	s_waitcnt vmcnt(10) lgkmcnt(0)                             // 0000000067D8: BF8C007A
	v_mfma_i32_16x16x32_i8 v[48:51], a[80:81], a[0:1], v[48:51]// 0000000067DC: D3D70030 1CC20150
	buffer_load_dwordx4 a[56:59], v42, s[24:27], 0 offen       // 0000000067E4: E05C1000 8086382A
	v_mfma_i32_16x16x32_i8 v[48:51], a[82:83], a[2:3], v[48:51]// 0000000067EC: D3D70030 1CC20552
	v_mfma_i32_16x16x32_i8 v[48:51], a[84:85], a[4:5], v[48:51]// 0000000067F4: D3D70030 1CC20954
	v_mfma_i32_16x16x32_i8 v[48:51], a[86:87], a[6:7], v[48:51]// 0000000067FC: D3D70030 1CC20D56
	v_mfma_i32_16x16x32_i8 v[56:59], a[88:89], a[0:1], v[56:59]// 000000006804: D3D70038 1CE20158
	buffer_load_dwordx4 a[60:63], v42, s[24:27], 0 offen offset:1024// 00000000680C: E05C1400 80863C2A
	v_mfma_i32_16x16x32_i8 v[56:59], a[90:91], a[2:3], v[56:59]// 000000006814: D3D70038 1CE2055A
	v_mfma_i32_16x16x32_i8 v[56:59], a[92:93], a[4:5], v[56:59]// 00000000681C: D3D70038 1CE2095C
	v_mfma_i32_16x16x32_i8 v[56:59], a[94:95], a[6:7], v[56:59]// 000000006824: D3D70038 1CE20D5E
	v_mfma_i32_16x16x32_i8 v[64:67], a[96:97], a[0:1], v[64:67]// 00000000682C: D3D70040 1D020160
	buffer_load_dwordx4 a[64:67], v43, s[24:27], 0 offen       // 000000006834: E05C1000 8086402B
	v_mfma_i32_16x16x32_i8 v[64:67], a[98:99], a[2:3], v[64:67]// 00000000683C: D3D70040 1D020562
	v_mfma_i32_16x16x32_i8 v[64:67], a[100:101], a[4:5], v[64:67]// 000000006844: D3D70040 1D020964
	v_mfma_i32_16x16x32_i8 v[64:67], a[102:103], a[6:7], v[64:67]// 00000000684C: D3D70040 1D020D66
	v_mfma_i32_16x16x32_i8 v[52:55], a[80:81], a[8:9], v[52:55]// 000000006854: D3D70034 1CD21150
	buffer_load_dwordx4 a[68:71], v43, s[24:27], 0 offen offset:1024// 00000000685C: E05C1400 8086442B
	v_mfma_i32_16x16x32_i8 v[52:55], a[82:83], a[10:11], v[52:55]// 000000006864: D3D70034 1CD21552
	v_mfma_i32_16x16x32_i8 v[52:55], a[84:85], a[12:13], v[52:55]// 00000000686C: D3D70034 1CD21954
	v_mfma_i32_16x16x32_i8 v[52:55], a[86:87], a[14:15], v[52:55]// 000000006874: D3D70034 1CD21D56
	v_mfma_i32_16x16x32_i8 v[60:63], a[88:89], a[8:9], v[60:63]// 00000000687C: D3D7003C 1CF21158
	buffer_load_dwordx4 a[72:75], v44, s[24:27], 0 offen       // 000000006884: E05C1000 8086482C
	v_mfma_i32_16x16x32_i8 v[60:63], a[90:91], a[10:11], v[60:63]// 00000000688C: D3D7003C 1CF2155A
	v_mfma_i32_16x16x32_i8 v[60:63], a[92:93], a[12:13], v[60:63]// 000000006894: D3D7003C 1CF2195C
	v_mfma_i32_16x16x32_i8 v[60:63], a[94:95], a[14:15], v[60:63]// 00000000689C: D3D7003C 1CF21D5E
	v_mfma_i32_16x16x32_i8 v[68:71], a[96:97], a[8:9], v[68:71]// 0000000068A4: D3D70044 1D121160
	buffer_load_dwordx4 a[76:79], v44, s[24:27], 0 offen offset:1024// 0000000068AC: E05C1400 80864C2C
	buffer_load_dword v38, s[20:23], 0 offen lds               // 0000000068B4: E0511000 80050026
	s_add_u32 m0, 0x100, s48                                   // 0000000068BC: 807C30FF 00000100
	v_mfma_i32_16x16x32_i8 v[68:71], a[98:99], a[10:11], v[68:71]// 0000000068C4: D3D70044 1D121562
	v_mfma_i32_16x16x32_i8 v[68:71], a[100:101], a[12:13], v[68:71]// 0000000068CC: D3D70044 1D121964
	buffer_load_dword v39, s[20:23], 0 offen lds               // 0000000068D4: E0511000 80050027
	s_add_u32 m0, 0x200, s48                                   // 0000000068DC: 807C30FF 00000200
	v_mfma_i32_16x16x32_i8 v[68:71], a[102:103], a[14:15], v[68:71]// 0000000068E4: D3D70044 1D121D66
	buffer_load_dword v40, s[20:23], 0 offen lds               // 0000000068EC: E0511000 80050028
	s_add_u32 m0, 0x300, s48                                   // 0000000068F4: 807C30FF 00000300
	buffer_load_dword v41, s[20:23], 0 offen lds               // 0000000068FC: E0511000 80050029
	s_add_u32 m0, 0, s49                                       // 000000006904: 807C3180
	s_waitcnt vmcnt(10)                                        // 000000006908: BF8C0F7A
	s_barrier                                                  // 00000000690C: BF8A0000
	v_mfma_i32_16x16x32_i8 v[72:75], a[32:33], a[0:1], v[72:75]// 000000006910: D3D70048 1D220120
	buffer_load_dwordx4 a[80:83], v42, s[84:87], 0 offen       // 000000006918: E05C1000 8095502A
	v_mfma_i32_16x16x32_i8 v[72:75], a[34:35], a[2:3], v[72:75]// 000000006920: D3D70048 1D220522
	v_mfma_i32_16x16x32_i8 v[72:75], a[36:37], a[4:5], v[72:75]// 000000006928: D3D70048 1D220924
	ds_read_b128 a[16:19], v2 offset:8448                      // 000000006930: DBFE2100 10000002
	ds_read_b128 a[20:23], v2 offset:8512                      // 000000006938: DBFE2140 14000002
	v_mfma_i32_16x16x32_i8 v[72:75], a[38:39], a[6:7], v[72:75]// 000000006940: D3D70048 1D220D26
	v_mfma_i32_16x16x32_i8 v[80:83], a[40:41], a[0:1], v[80:83]// 000000006948: D3D70050 1D420128
	buffer_load_dwordx4 a[84:87], v42, s[84:87], 0 offen offset:1024// 000000006950: E05C1400 8095542A
	v_mfma_i32_16x16x32_i8 v[80:83], a[42:43], a[2:3], v[80:83]// 000000006958: D3D70050 1D42052A
	v_mfma_i32_16x16x32_i8 v[80:83], a[44:45], a[4:5], v[80:83]// 000000006960: D3D70050 1D42092C
	ds_read_b128 a[24:27], v2 offset:8960                      // 000000006968: DBFE2300 18000002
	ds_read_b128 a[28:31], v2 offset:9024                      // 000000006970: DBFE2340 1C000002
	v_mfma_i32_16x16x32_i8 v[80:83], a[46:47], a[6:7], v[80:83]// 000000006978: D3D70050 1D420D2E
	v_mfma_i32_16x16x32_i8 v[88:91], a[48:49], a[0:1], v[88:91]// 000000006980: D3D70058 1D620130
	buffer_load_dwordx4 a[88:91], v43, s[84:87], 0 offen       // 000000006988: E05C1000 8095582B
	v_mfma_i32_16x16x32_i8 v[88:91], a[50:51], a[2:3], v[88:91]// 000000006990: D3D70058 1D620532
	v_mfma_i32_16x16x32_i8 v[88:91], a[52:53], a[4:5], v[88:91]// 000000006998: D3D70058 1D620934
	v_mfma_i32_16x16x32_i8 v[88:91], a[54:55], a[6:7], v[88:91]// 0000000069A0: D3D70058 1D620D36
	v_mfma_i32_16x16x32_i8 v[76:79], a[32:33], a[8:9], v[76:79]// 0000000069A8: D3D7004C 1D321120
	buffer_load_dwordx4 a[92:95], v43, s[84:87], 0 offen offset:1024// 0000000069B0: E05C1400 80955C2B
	v_mfma_i32_16x16x32_i8 v[76:79], a[34:35], a[10:11], v[76:79]// 0000000069B8: D3D7004C 1D321522
	v_mfma_i32_16x16x32_i8 v[76:79], a[36:37], a[12:13], v[76:79]// 0000000069C0: D3D7004C 1D321924
	v_mfma_i32_16x16x32_i8 v[76:79], a[38:39], a[14:15], v[76:79]// 0000000069C8: D3D7004C 1D321D26
	v_mfma_i32_16x16x32_i8 v[84:87], a[40:41], a[8:9], v[84:87]// 0000000069D0: D3D70054 1D521128
	buffer_load_dwordx4 a[96:99], v44, s[84:87], 0 offen       // 0000000069D8: E05C1000 8095602C
	s_add_u32 s60, 0x180, s80                                  // 0000000069E0: 803C50FF 00000180
	s_cmp_lt_u32 s60, s81                                      // 0000000069E8: BF0A513C
	s_cselect_b32 s57, s57, 0                                  // 0000000069EC: 85398039
	v_mfma_i32_16x16x32_i8 v[84:87], a[42:43], a[10:11], v[84:87]// 0000000069F0: D3D70054 1D52152A
	s_add_u32 s60, 0x100, s80                                  // 0000000069F8: 803C50FF 00000100
	s_cmp_lt_u32 s60, s81                                      // 000000006A00: BF0A513C
	s_cselect_b32 s58, s58, 0                                  // 000000006A04: 853A803A
	v_mfma_i32_16x16x32_i8 v[84:87], a[44:45], a[12:13], v[84:87]// 000000006A08: D3D70054 1D52192C
	s_add_u32 s60, 0x100, s80                                  // 000000006A10: 803C50FF 00000100
	s_cmp_lt_u32 s60, s81                                      // 000000006A18: BF0A513C
	s_cselect_b32 s83, s83, 0                                  // 000000006A1C: 85538053
	v_mfma_i32_16x16x32_i8 v[84:87], a[46:47], a[14:15], v[84:87]// 000000006A20: D3D70054 1D521D2E
	s_add_u32 s24, s58, s24                                    // 000000006A28: 8018183A
	s_addc_u32 s25, 0, s25                                     // 000000006A2C: 82191980
	v_mfma_i32_16x16x32_i8 v[92:95], a[48:49], a[8:9], v[92:95]// 000000006A30: D3D7005C 1D721130
	buffer_load_dwordx4 a[100:103], v44, s[84:87], 0 offen offset:1024// 000000006A38: E05C1400 8095642C
	s_add_u32 s20, s57, s20                                    // 000000006A40: 80141439
	s_addc_u32 s21, 0, s21                                     // 000000006A44: 82151580
	v_mfma_i32_16x16x32_i8 v[92:95], a[50:51], a[10:11], v[92:95]// 000000006A48: D3D7005C 1D721532
	s_add_u32 s84, s83, s84                                    // 000000006A50: 80545453
	s_addc_u32 s85, 0, s85                                     // 000000006A54: 82555580
	v_mfma_i32_16x16x32_i8 v[92:95], a[52:53], a[12:13], v[92:95]// 000000006A58: D3D7005C 1D721934
	v_mfma_i32_16x16x32_i8 v[92:95], a[54:55], a[14:15], v[92:95]// 000000006A60: D3D7005C 1D721D36
	s_addk_i32 s80, 0x80                                       // 000000006A68: B7500080
	s_cmp_lt_i32 s80, s81                                      // 000000006A6C: BF045150
	s_cbranch_scc0 label_1048                                  // 000000006A70: BF8400A8
	s_waitcnt vmcnt(10) lgkmcnt(0)                             // 000000006A74: BF8C007A
	v_mfma_i32_16x16x32_i8 v[48:51], a[56:57], a[16:17], v[48:51]// 000000006A78: D3D70030 1CC22138
	buffer_load_dwordx4 a[32:35], v42, s[24:27], 0 offen       // 000000006A80: E05C1000 8086202A
	v_mfma_i32_16x16x32_i8 v[48:51], a[58:59], a[18:19], v[48:51]// 000000006A88: D3D70030 1CC2253A
	v_mfma_i32_16x16x32_i8 v[48:51], a[60:61], a[20:21], v[48:51]// 000000006A90: D3D70030 1CC2293C
	v_mfma_i32_16x16x32_i8 v[48:51], a[62:63], a[22:23], v[48:51]// 000000006A98: D3D70030 1CC22D3E
	v_mfma_i32_16x16x32_i8 v[56:59], a[64:65], a[16:17], v[56:59]// 000000006AA0: D3D70038 1CE22140
	buffer_load_dwordx4 a[36:39], v42, s[24:27], 0 offen offset:1024// 000000006AA8: E05C1400 8086242A
	v_mfma_i32_16x16x32_i8 v[56:59], a[66:67], a[18:19], v[56:59]// 000000006AB0: D3D70038 1CE22542
	v_mfma_i32_16x16x32_i8 v[56:59], a[68:69], a[20:21], v[56:59]// 000000006AB8: D3D70038 1CE22944
	v_mfma_i32_16x16x32_i8 v[56:59], a[70:71], a[22:23], v[56:59]// 000000006AC0: D3D70038 1CE22D46
	v_mfma_i32_16x16x32_i8 v[64:67], a[72:73], a[16:17], v[64:67]// 000000006AC8: D3D70040 1D022148
	buffer_load_dwordx4 a[40:43], v43, s[24:27], 0 offen       // 000000006AD0: E05C1000 8086282B
	v_mfma_i32_16x16x32_i8 v[64:67], a[74:75], a[18:19], v[64:67]// 000000006AD8: D3D70040 1D02254A
	v_mfma_i32_16x16x32_i8 v[64:67], a[76:77], a[20:21], v[64:67]// 000000006AE0: D3D70040 1D02294C
	v_mfma_i32_16x16x32_i8 v[64:67], a[78:79], a[22:23], v[64:67]// 000000006AE8: D3D70040 1D022D4E
	v_mfma_i32_16x16x32_i8 v[52:55], a[56:57], a[24:25], v[52:55]// 000000006AF0: D3D70034 1CD23138
	buffer_load_dwordx4 a[44:47], v43, s[24:27], 0 offen offset:1024// 000000006AF8: E05C1400 80862C2B
	v_mfma_i32_16x16x32_i8 v[52:55], a[58:59], a[26:27], v[52:55]// 000000006B00: D3D70034 1CD2353A
	v_mfma_i32_16x16x32_i8 v[52:55], a[60:61], a[28:29], v[52:55]// 000000006B08: D3D70034 1CD2393C
	v_mfma_i32_16x16x32_i8 v[52:55], a[62:63], a[30:31], v[52:55]// 000000006B10: D3D70034 1CD23D3E
	v_mfma_i32_16x16x32_i8 v[60:63], a[64:65], a[24:25], v[60:63]// 000000006B18: D3D7003C 1CF23140
	buffer_load_dwordx4 a[48:51], v44, s[24:27], 0 offen       // 000000006B20: E05C1000 8086302C
	v_mfma_i32_16x16x32_i8 v[60:63], a[66:67], a[26:27], v[60:63]// 000000006B28: D3D7003C 1CF23542
	v_mfma_i32_16x16x32_i8 v[60:63], a[68:69], a[28:29], v[60:63]// 000000006B30: D3D7003C 1CF23944
	v_mfma_i32_16x16x32_i8 v[60:63], a[70:71], a[30:31], v[60:63]// 000000006B38: D3D7003C 1CF23D46
	v_mfma_i32_16x16x32_i8 v[68:71], a[72:73], a[24:25], v[68:71]// 000000006B40: D3D70044 1D123148
	buffer_load_dwordx4 a[52:55], v44, s[24:27], 0 offen offset:1024// 000000006B48: E05C1400 8086342C
	buffer_load_dword v38, s[20:23], 0 offen lds               // 000000006B50: E0511000 80050026
	s_add_u32 m0, 0x100, s49                                   // 000000006B58: 807C31FF 00000100
	v_mfma_i32_16x16x32_i8 v[68:71], a[74:75], a[26:27], v[68:71]// 000000006B60: D3D70044 1D12354A
	v_mfma_i32_16x16x32_i8 v[68:71], a[76:77], a[28:29], v[68:71]// 000000006B68: D3D70044 1D12394C
	buffer_load_dword v39, s[20:23], 0 offen lds               // 000000006B70: E0511000 80050027
	s_add_u32 m0, 0x200, s49                                   // 000000006B78: 807C31FF 00000200
	v_mfma_i32_16x16x32_i8 v[68:71], a[78:79], a[30:31], v[68:71]// 000000006B80: D3D70044 1D123D4E
	buffer_load_dword v40, s[20:23], 0 offen lds               // 000000006B88: E0511000 80050028
	s_add_u32 m0, 0x300, s49                                   // 000000006B90: 807C31FF 00000300
	buffer_load_dword v41, s[20:23], 0 offen lds               // 000000006B98: E0511000 80050029
	s_add_u32 m0, 0, s50                                       // 000000006BA0: 807C3280
	s_waitcnt vmcnt(10)                                        // 000000006BA4: BF8C0F7A
	s_barrier                                                  // 000000006BA8: BF8A0000
	v_mfma_i32_16x16x32_i8 v[72:75], a[80:81], a[16:17], v[72:75]// 000000006BAC: D3D70048 1D222150
	buffer_load_dwordx4 a[56:59], v42, s[84:87], 0 offen       // 000000006BB4: E05C1000 8095382A
	v_mfma_i32_16x16x32_i8 v[72:75], a[82:83], a[18:19], v[72:75]// 000000006BBC: D3D70048 1D222552
	v_mfma_i32_16x16x32_i8 v[72:75], a[84:85], a[20:21], v[72:75]// 000000006BC4: D3D70048 1D222954
	ds_read_b128 a[0:3], v2                                    // 000000006BCC: DBFE0000 00000002
	ds_read_b128 a[4:7], v2 offset:64                          // 000000006BD4: DBFE0040 04000002
	v_mfma_i32_16x16x32_i8 v[72:75], a[86:87], a[22:23], v[72:75]// 000000006BDC: D3D70048 1D222D56
	v_mfma_i32_16x16x32_i8 v[80:83], a[88:89], a[16:17], v[80:83]// 000000006BE4: D3D70050 1D422158
	buffer_load_dwordx4 a[60:63], v42, s[84:87], 0 offen offset:1024// 000000006BEC: E05C1400 80953C2A
	v_mfma_i32_16x16x32_i8 v[80:83], a[90:91], a[18:19], v[80:83]// 000000006BF4: D3D70050 1D42255A
	v_mfma_i32_16x16x32_i8 v[80:83], a[92:93], a[20:21], v[80:83]// 000000006BFC: D3D70050 1D42295C
	ds_read_b128 a[8:11], v2 offset:512                        // 000000006C04: DBFE0200 08000002
	ds_read_b128 a[12:15], v2 offset:576                       // 000000006C0C: DBFE0240 0C000002
	v_mfma_i32_16x16x32_i8 v[80:83], a[94:95], a[22:23], v[80:83]// 000000006C14: D3D70050 1D422D5E
	v_mfma_i32_16x16x32_i8 v[88:91], a[96:97], a[16:17], v[88:91]// 000000006C1C: D3D70058 1D622160
	buffer_load_dwordx4 a[64:67], v43, s[84:87], 0 offen       // 000000006C24: E05C1000 8095402B
	v_mfma_i32_16x16x32_i8 v[88:91], a[98:99], a[18:19], v[88:91]// 000000006C2C: D3D70058 1D622562
	v_mfma_i32_16x16x32_i8 v[88:91], a[100:101], a[20:21], v[88:91]// 000000006C34: D3D70058 1D622964
	v_mfma_i32_16x16x32_i8 v[88:91], a[102:103], a[22:23], v[88:91]// 000000006C3C: D3D70058 1D622D66
	v_mfma_i32_16x16x32_i8 v[76:79], a[80:81], a[24:25], v[76:79]// 000000006C44: D3D7004C 1D323150
	buffer_load_dwordx4 a[68:71], v43, s[84:87], 0 offen offset:1024// 000000006C4C: E05C1400 8095442B
	v_mfma_i32_16x16x32_i8 v[76:79], a[82:83], a[26:27], v[76:79]// 000000006C54: D3D7004C 1D323552
	v_mfma_i32_16x16x32_i8 v[76:79], a[84:85], a[28:29], v[76:79]// 000000006C5C: D3D7004C 1D323954
	v_mfma_i32_16x16x32_i8 v[76:79], a[86:87], a[30:31], v[76:79]// 000000006C64: D3D7004C 1D323D56
	v_mfma_i32_16x16x32_i8 v[84:87], a[88:89], a[24:25], v[84:87]// 000000006C6C: D3D70054 1D523158
	buffer_load_dwordx4 a[72:75], v44, s[84:87], 0 offen       // 000000006C74: E05C1000 8095482C
	s_add_u32 s60, 0x180, s80                                  // 000000006C7C: 803C50FF 00000180
	s_cmp_lt_u32 s60, s81                                      // 000000006C84: BF0A513C
	s_cselect_b32 s57, s57, 0                                  // 000000006C88: 85398039
	v_mfma_i32_16x16x32_i8 v[84:87], a[90:91], a[26:27], v[84:87]// 000000006C8C: D3D70054 1D52355A
	s_add_u32 s60, 0x100, s80                                  // 000000006C94: 803C50FF 00000100
	s_cmp_lt_u32 s60, s81                                      // 000000006C9C: BF0A513C
	s_cselect_b32 s58, s58, 0                                  // 000000006CA0: 853A803A
	v_mfma_i32_16x16x32_i8 v[84:87], a[92:93], a[28:29], v[84:87]// 000000006CA4: D3D70054 1D52395C
	s_add_u32 s60, 0x100, s80                                  // 000000006CAC: 803C50FF 00000100
	s_cmp_lt_u32 s60, s81                                      // 000000006CB4: BF0A513C
	s_cselect_b32 s83, s83, 0                                  // 000000006CB8: 85538053
	v_mfma_i32_16x16x32_i8 v[84:87], a[94:95], a[30:31], v[84:87]// 000000006CBC: D3D70054 1D523D5E
	s_add_u32 s24, s58, s24                                    // 000000006CC4: 8018183A
	s_addc_u32 s25, 0, s25                                     // 000000006CC8: 82191980
	v_mfma_i32_16x16x32_i8 v[92:95], a[96:97], a[24:25], v[92:95]// 000000006CCC: D3D7005C 1D723160
	buffer_load_dwordx4 a[76:79], v44, s[84:87], 0 offen offset:1024// 000000006CD4: E05C1400 80954C2C
	s_add_u32 s20, s57, s20                                    // 000000006CDC: 80141439
	s_addc_u32 s21, 0, s21                                     // 000000006CE0: 82151580
	v_mfma_i32_16x16x32_i8 v[92:95], a[98:99], a[26:27], v[92:95]// 000000006CE4: D3D7005C 1D723562
	s_add_u32 s84, s83, s84                                    // 000000006CEC: 80545453
	s_addc_u32 s85, 0, s85                                     // 000000006CF0: 82555580
	v_mfma_i32_16x16x32_i8 v[92:95], a[100:101], a[28:29], v[92:95]// 000000006CF4: D3D7005C 1D723964
	v_mfma_i32_16x16x32_i8 v[92:95], a[102:103], a[30:31], v[92:95]// 000000006CFC: D3D7005C 1D723D66
	s_addk_i32 s80, 0x80                                       // 000000006D04: B7500080
	s_cmp_lt_i32 s80, s81                                      // 000000006D08: BF045150
	s_cbranch_scc0 label_1048                                  // 000000006D0C: BF840001
	s_branch label_0C5D                                        // 000000006D10: BF82FC15

0000000000006d14 <label_1048>:
	v_cvt_f32_i32_e32 v48, v48                                 // 000000006D14: 7E600B30
	v_cvt_f32_i32_e32 v49, v49                                 // 000000006D18: 7E620B31
	v_cvt_f32_i32_e32 v50, v50                                 // 000000006D1C: 7E640B32
	v_cvt_f32_i32_e32 v51, v51                                 // 000000006D20: 7E660B33
	v_mul_f32_dpp v48, v24, v48 row_newbcast:0 row_mask:0xf bank_mask:0xf// 000000006D24: 0A6060FA FF015018
	v_mul_f32_dpp v49, v24, v49 row_newbcast:1 row_mask:0xf bank_mask:0xf// 000000006D2C: 0A6262FA FF015118
	v_mul_f32_dpp v50, v24, v50 row_newbcast:2 row_mask:0xf bank_mask:0xf// 000000006D34: 0A6464FA FF015218
	v_mul_f32_dpp v51, v24, v51 row_newbcast:3 row_mask:0xf bank_mask:0xf// 000000006D3C: 0A6666FA FF015318
	v_cvt_f32_i32_e32 v52, v52                                 // 000000006D44: 7E680B34
	v_cvt_f32_i32_e32 v53, v53                                 // 000000006D48: 7E6A0B35
	v_cvt_f32_i32_e32 v54, v54                                 // 000000006D4C: 7E6C0B36
	v_cvt_f32_i32_e32 v55, v55                                 // 000000006D50: 7E6E0B37
	v_mul_f32_dpp v52, v24, v52 row_newbcast:0 row_mask:0xf bank_mask:0xf// 000000006D54: 0A6868FA FF015018
	v_mul_f32_dpp v53, v24, v53 row_newbcast:1 row_mask:0xf bank_mask:0xf// 000000006D5C: 0A6A6AFA FF015118
	v_mul_f32_dpp v54, v24, v54 row_newbcast:2 row_mask:0xf bank_mask:0xf// 000000006D64: 0A6C6CFA FF015218
	v_mul_f32_dpp v55, v24, v55 row_newbcast:3 row_mask:0xf bank_mask:0xf// 000000006D6C: 0A6E6EFA FF015318
	v_cvt_f32_i32_e32 v56, v56                                 // 000000006D74: 7E700B38
	v_cvt_f32_i32_e32 v57, v57                                 // 000000006D78: 7E720B39
	v_cvt_f32_i32_e32 v58, v58                                 // 000000006D7C: 7E740B3A
	v_cvt_f32_i32_e32 v59, v59                                 // 000000006D80: 7E760B3B
	v_mul_f32_dpp v56, v24, v56 row_newbcast:4 row_mask:0xf bank_mask:0xf// 000000006D84: 0A7070FA FF015418
	v_mul_f32_dpp v57, v24, v57 row_newbcast:5 row_mask:0xf bank_mask:0xf// 000000006D8C: 0A7272FA FF015518
	v_mul_f32_dpp v58, v24, v58 row_newbcast:6 row_mask:0xf bank_mask:0xf// 000000006D94: 0A7474FA FF015618
	v_mul_f32_dpp v59, v24, v59 row_newbcast:7 row_mask:0xf bank_mask:0xf// 000000006D9C: 0A7676FA FF015718
	v_cvt_f32_i32_e32 v60, v60                                 // 000000006DA4: 7E780B3C
	v_cvt_f32_i32_e32 v61, v61                                 // 000000006DA8: 7E7A0B3D
	v_cvt_f32_i32_e32 v62, v62                                 // 000000006DAC: 7E7C0B3E
	v_cvt_f32_i32_e32 v63, v63                                 // 000000006DB0: 7E7E0B3F
	v_mul_f32_dpp v60, v24, v60 row_newbcast:4 row_mask:0xf bank_mask:0xf// 000000006DB4: 0A7878FA FF015418
	v_mul_f32_dpp v61, v24, v61 row_newbcast:5 row_mask:0xf bank_mask:0xf// 000000006DBC: 0A7A7AFA FF015518
	v_mul_f32_dpp v62, v24, v62 row_newbcast:6 row_mask:0xf bank_mask:0xf// 000000006DC4: 0A7C7CFA FF015618
	v_mul_f32_dpp v63, v24, v63 row_newbcast:7 row_mask:0xf bank_mask:0xf// 000000006DCC: 0A7E7EFA FF015718
	v_cvt_f32_i32_e32 v64, v64                                 // 000000006DD4: 7E800B40
	v_cvt_f32_i32_e32 v65, v65                                 // 000000006DD8: 7E820B41
	v_cvt_f32_i32_e32 v66, v66                                 // 000000006DDC: 7E840B42
	v_cvt_f32_i32_e32 v67, v67                                 // 000000006DE0: 7E860B43
	v_mul_f32_dpp v64, v24, v64 row_newbcast:8 row_mask:0xf bank_mask:0xf// 000000006DE4: 0A8080FA FF015818
	v_mul_f32_dpp v65, v24, v65 row_newbcast:9 row_mask:0xf bank_mask:0xf// 000000006DEC: 0A8282FA FF015918
	v_mul_f32_dpp v66, v24, v66 row_newbcast:10 row_mask:0xf bank_mask:0xf// 000000006DF4: 0A8484FA FF015A18
	v_mul_f32_dpp v67, v24, v67 row_newbcast:11 row_mask:0xf bank_mask:0xf// 000000006DFC: 0A8686FA FF015B18
	v_cvt_f32_i32_e32 v68, v68                                 // 000000006E04: 7E880B44
	v_cvt_f32_i32_e32 v69, v69                                 // 000000006E08: 7E8A0B45
	v_cvt_f32_i32_e32 v70, v70                                 // 000000006E0C: 7E8C0B46
	v_cvt_f32_i32_e32 v71, v71                                 // 000000006E10: 7E8E0B47
	v_mul_f32_dpp v68, v24, v68 row_newbcast:8 row_mask:0xf bank_mask:0xf// 000000006E14: 0A8888FA FF015818
	v_mul_f32_dpp v69, v24, v69 row_newbcast:9 row_mask:0xf bank_mask:0xf// 000000006E1C: 0A8A8AFA FF015918
	v_mul_f32_dpp v70, v24, v70 row_newbcast:10 row_mask:0xf bank_mask:0xf// 000000006E24: 0A8C8CFA FF015A18
	v_mul_f32_dpp v71, v24, v71 row_newbcast:11 row_mask:0xf bank_mask:0xf// 000000006E2C: 0A8E8EFA FF015B18
	v_cvt_f32_i32_e32 v72, v72                                 // 000000006E34: 7E900B48
	v_cvt_f32_i32_e32 v73, v73                                 // 000000006E38: 7E920B49
	v_cvt_f32_i32_e32 v74, v74                                 // 000000006E3C: 7E940B4A
	v_cvt_f32_i32_e32 v75, v75                                 // 000000006E40: 7E960B4B
	v_mul_f32_dpp v72, v27, v72 row_newbcast:0 row_mask:0xf bank_mask:0xf// 000000006E44: 0A9090FA FF01501B
	v_mul_f32_dpp v73, v27, v73 row_newbcast:1 row_mask:0xf bank_mask:0xf// 000000006E4C: 0A9292FA FF01511B
	v_mul_f32_dpp v74, v27, v74 row_newbcast:2 row_mask:0xf bank_mask:0xf// 000000006E54: 0A9494FA FF01521B
	v_mul_f32_dpp v75, v27, v75 row_newbcast:3 row_mask:0xf bank_mask:0xf// 000000006E5C: 0A9696FA FF01531B
	v_cvt_f32_i32_e32 v76, v76                                 // 000000006E64: 7E980B4C
	v_cvt_f32_i32_e32 v77, v77                                 // 000000006E68: 7E9A0B4D
	v_cvt_f32_i32_e32 v78, v78                                 // 000000006E6C: 7E9C0B4E
	v_cvt_f32_i32_e32 v79, v79                                 // 000000006E70: 7E9E0B4F
	v_mul_f32_dpp v76, v27, v76 row_newbcast:0 row_mask:0xf bank_mask:0xf// 000000006E74: 0A9898FA FF01501B
	v_mul_f32_dpp v77, v27, v77 row_newbcast:1 row_mask:0xf bank_mask:0xf// 000000006E7C: 0A9A9AFA FF01511B
	v_mul_f32_dpp v78, v27, v78 row_newbcast:2 row_mask:0xf bank_mask:0xf// 000000006E84: 0A9C9CFA FF01521B
	v_mul_f32_dpp v79, v27, v79 row_newbcast:3 row_mask:0xf bank_mask:0xf// 000000006E8C: 0A9E9EFA FF01531B
	v_cvt_f32_i32_e32 v80, v80                                 // 000000006E94: 7EA00B50
	v_cvt_f32_i32_e32 v81, v81                                 // 000000006E98: 7EA20B51
	v_cvt_f32_i32_e32 v82, v82                                 // 000000006E9C: 7EA40B52
	v_cvt_f32_i32_e32 v83, v83                                 // 000000006EA0: 7EA60B53
	v_mul_f32_dpp v80, v27, v80 row_newbcast:4 row_mask:0xf bank_mask:0xf// 000000006EA4: 0AA0A0FA FF01541B
	v_mul_f32_dpp v81, v27, v81 row_newbcast:5 row_mask:0xf bank_mask:0xf// 000000006EAC: 0AA2A2FA FF01551B
	v_mul_f32_dpp v82, v27, v82 row_newbcast:6 row_mask:0xf bank_mask:0xf// 000000006EB4: 0AA4A4FA FF01561B
	v_mul_f32_dpp v83, v27, v83 row_newbcast:7 row_mask:0xf bank_mask:0xf// 000000006EBC: 0AA6A6FA FF01571B
	v_cvt_f32_i32_e32 v84, v84                                 // 000000006EC4: 7EA80B54
	v_cvt_f32_i32_e32 v85, v85                                 // 000000006EC8: 7EAA0B55
	v_cvt_f32_i32_e32 v86, v86                                 // 000000006ECC: 7EAC0B56
	v_cvt_f32_i32_e32 v87, v87                                 // 000000006ED0: 7EAE0B57
	v_mul_f32_dpp v84, v27, v84 row_newbcast:4 row_mask:0xf bank_mask:0xf// 000000006ED4: 0AA8A8FA FF01541B
	v_mul_f32_dpp v85, v27, v85 row_newbcast:5 row_mask:0xf bank_mask:0xf// 000000006EDC: 0AAAAAFA FF01551B
	v_mul_f32_dpp v86, v27, v86 row_newbcast:6 row_mask:0xf bank_mask:0xf// 000000006EE4: 0AACACFA FF01561B
	v_mul_f32_dpp v87, v27, v87 row_newbcast:7 row_mask:0xf bank_mask:0xf// 000000006EEC: 0AAEAEFA FF01571B
	v_cvt_f32_i32_e32 v88, v88                                 // 000000006EF4: 7EB00B58
	v_cvt_f32_i32_e32 v89, v89                                 // 000000006EF8: 7EB20B59
	v_cvt_f32_i32_e32 v90, v90                                 // 000000006EFC: 7EB40B5A
	v_cvt_f32_i32_e32 v91, v91                                 // 000000006F00: 7EB60B5B
	v_mul_f32_dpp v88, v27, v88 row_newbcast:8 row_mask:0xf bank_mask:0xf// 000000006F04: 0AB0B0FA FF01581B
	v_mul_f32_dpp v89, v27, v89 row_newbcast:9 row_mask:0xf bank_mask:0xf// 000000006F0C: 0AB2B2FA FF01591B
	v_mul_f32_dpp v90, v27, v90 row_newbcast:10 row_mask:0xf bank_mask:0xf// 000000006F14: 0AB4B4FA FF015A1B
	v_mul_f32_dpp v91, v27, v91 row_newbcast:11 row_mask:0xf bank_mask:0xf// 000000006F1C: 0AB6B6FA FF015B1B
	v_cvt_f32_i32_e32 v92, v92                                 // 000000006F24: 7EB80B5C
	v_cvt_f32_i32_e32 v93, v93                                 // 000000006F28: 7EBA0B5D
	v_cvt_f32_i32_e32 v94, v94                                 // 000000006F2C: 7EBC0B5E
	v_cvt_f32_i32_e32 v95, v95                                 // 000000006F30: 7EBE0B5F
	v_mul_f32_dpp v92, v27, v92 row_newbcast:8 row_mask:0xf bank_mask:0xf// 000000006F34: 0AB8B8FA FF01581B
	v_mul_f32_dpp v93, v27, v93 row_newbcast:9 row_mask:0xf bank_mask:0xf// 000000006F3C: 0ABABAFA FF01591B
	v_mul_f32_dpp v94, v27, v94 row_newbcast:10 row_mask:0xf bank_mask:0xf// 000000006F44: 0ABCBCFA FF015A1B
	v_mul_f32_dpp v95, v27, v95 row_newbcast:11 row_mask:0xf bank_mask:0xf// 000000006F4C: 0ABEBEFA FF015B1B
	v_mov_b32_e32 v4, v32                                      // 000000006F54: 7E080320
	v_mov_b32_e32 v5, v4                                       // 000000006F58: 7E0A0304
	v_pk_mul_f32 v[48:49], v[4:5], v[48:49]                    // 000000006F5C: D3B14030 18026104
	v_pk_mul_f32 v[72:73], v[4:5], v[72:73]                    // 000000006F64: D3B14048 18029104
	v_pk_mul_f32 v[50:51], v[4:5], v[50:51]                    // 000000006F6C: D3B14032 18026504
	v_pk_mul_f32 v[74:75], v[4:5], v[74:75]                    // 000000006F74: D3B1404A 18029504
	v_pk_mul_f32 v[56:57], v[4:5], v[56:57]                    // 000000006F7C: D3B14038 18027104
	v_pk_mul_f32 v[80:81], v[4:5], v[80:81]                    // 000000006F84: D3B14050 1802A104
	v_pk_mul_f32 v[58:59], v[4:5], v[58:59]                    // 000000006F8C: D3B1403A 18027504
	v_pk_mul_f32 v[82:83], v[4:5], v[82:83]                    // 000000006F94: D3B14052 1802A504
	v_pk_mul_f32 v[64:65], v[4:5], v[64:65]                    // 000000006F9C: D3B14040 18028104
	v_pk_mul_f32 v[88:89], v[4:5], v[88:89]                    // 000000006FA4: D3B14058 1802B104
	v_pk_mul_f32 v[66:67], v[4:5], v[66:67]                    // 000000006FAC: D3B14042 18028504
	v_pk_mul_f32 v[90:91], v[4:5], v[90:91]                    // 000000006FB4: D3B1405A 1802B504
	v_mov_b32_e32 v4, v33                                      // 000000006FBC: 7E080321
	v_mov_b32_e32 v5, v4                                       // 000000006FC0: 7E0A0304
	v_pk_mul_f32 v[52:53], v[4:5], v[52:53]                    // 000000006FC4: D3B14034 18026904
	v_pk_mul_f32 v[76:77], v[4:5], v[76:77]                    // 000000006FCC: D3B1404C 18029904
	v_pk_mul_f32 v[54:55], v[4:5], v[54:55]                    // 000000006FD4: D3B14036 18026D04
	v_pk_mul_f32 v[78:79], v[4:5], v[78:79]                    // 000000006FDC: D3B1404E 18029D04
	v_pk_mul_f32 v[60:61], v[4:5], v[60:61]                    // 000000006FE4: D3B1403C 18027904
	v_pk_mul_f32 v[84:85], v[4:5], v[84:85]                    // 000000006FEC: D3B14054 1802A904
	v_pk_mul_f32 v[62:63], v[4:5], v[62:63]                    // 000000006FF4: D3B1403E 18027D04
	v_pk_mul_f32 v[86:87], v[4:5], v[86:87]                    // 000000006FFC: D3B14056 1802AD04
	v_pk_mul_f32 v[68:69], v[4:5], v[68:69]                    // 000000007004: D3B14044 18028904
	v_pk_mul_f32 v[92:93], v[4:5], v[92:93]                    // 00000000700C: D3B1405C 1802B904
	v_pk_mul_f32 v[70:71], v[4:5], v[70:71]                    // 000000007014: D3B14046 18028D04
	v_pk_mul_f32 v[94:95], v[4:5], v[94:95]                    // 00000000701C: D3B1405E 1802BD04
	s_cmp_eq_u32 s88, 0                                        // 000000007024: BF068058
	s_cbranch_scc0 label_145B                                  // 000000007028: BF84034D
	s_cmp_eq_u32 s89, 0                                        // 00000000702C: BF068059
	s_cbranch_scc1 label_1205                                  // 000000007030: BF8500F5
	v_mov_b32_e32 v8, v1                                       // 000000007034: 7E100301
	v_mov_b32_e32 v9, v1                                       // 000000007038: 7E120301
	s_mov_b32 s60, s6                                          // 00000000703C: BEBC0006
	s_mov_b32 s61, s6                                          // 000000007040: BEBD0006
	v_pk_mul_f32 v[4:5], v[48:49], v[48:49]                    // 000000007044: D3B14004 18026130
	v_pk_mul_f32 v[6:7], v[50:51], v[50:51]                    // 00000000704C: D3B14006 18026532
	v_pk_fma_f32 v[4:5], v[4:5], s[78:79], v[8:9]              // 000000007054: D3B04004 1C209D04
	v_pk_fma_f32 v[6:7], v[6:7], s[78:79], v[8:9]              // 00000000705C: D3B04006 1C209D06
	v_pk_mul_f32 v[4:5], v[4:5], v[48:49]                      // 000000007064: D3B14004 18026104
	v_pk_mul_f32 v[6:7], v[6:7], v[50:51]                      // 00000000706C: D3B14006 18026506
	v_pk_mul_f32 v[4:5], v[4:5], s[60:61]                      // 000000007074: D3B14004 18007904
	v_pk_mul_f32 v[6:7], v[6:7], s[60:61]                      // 00000000707C: D3B14006 18007906
	v_exp_f32_e32 v4, v4                                       // 000000007084: 7E084104
	v_exp_f32_e32 v5, v5                                       // 000000007088: 7E0A4105
	v_exp_f32_e32 v6, v6                                       // 00000000708C: 7E0C4106
	v_exp_f32_e32 v7, v7                                       // 000000007090: 7E0E4107
	v_add_f32_e64 v4, v4, 1.0                                  // 000000007094: D1010004 0001E504
	v_add_f32_e64 v5, v5, 1.0                                  // 00000000709C: D1010005 0001E505
	v_add_f32_e64 v6, v6, 1.0                                  // 0000000070A4: D1010006 0001E506
	v_add_f32_e64 v7, v7, 1.0                                  // 0000000070AC: D1010007 0001E507
	v_rcp_f32_e32 v4, v4                                       // 0000000070B4: 7E084504
	v_rcp_f32_e32 v5, v5                                       // 0000000070B8: 7E0A4505
	v_rcp_f32_e32 v6, v6                                       // 0000000070BC: 7E0C4506
	v_rcp_f32_e32 v7, v7                                       // 0000000070C0: 7E0E4507
	v_mul_f32_e32 v48, v48, v4                                 // 0000000070C4: 0A600930
	v_mul_f32_e32 v49, v49, v5                                 // 0000000070C8: 0A620B31
	v_mul_f32_e32 v50, v50, v6                                 // 0000000070CC: 0A640D32
	v_mul_f32_e32 v51, v51, v7                                 // 0000000070D0: 0A660F33
	v_mul_f32_e32 v48, v48, v72                                // 0000000070D4: 0A609130
	v_mul_f32_e32 v49, v49, v73                                // 0000000070D8: 0A629331
	v_mul_f32_e32 v50, v50, v74                                // 0000000070DC: 0A649532
	v_mul_f32_e32 v51, v51, v75                                // 0000000070E0: 0A669733
	v_pk_mul_f32 v[4:5], v[52:53], v[52:53]                    // 0000000070E4: D3B14004 18026934
	v_pk_mul_f32 v[6:7], v[54:55], v[54:55]                    // 0000000070EC: D3B14006 18026D36
	v_pk_fma_f32 v[4:5], v[4:5], s[78:79], v[8:9]              // 0000000070F4: D3B04004 1C209D04
	v_pk_fma_f32 v[6:7], v[6:7], s[78:79], v[8:9]              // 0000000070FC: D3B04006 1C209D06
	v_pk_mul_f32 v[4:5], v[4:5], v[52:53]                      // 000000007104: D3B14004 18026904
	v_pk_mul_f32 v[6:7], v[6:7], v[54:55]                      // 00000000710C: D3B14006 18026D06
	v_pk_mul_f32 v[4:5], v[4:5], s[60:61]                      // 000000007114: D3B14004 18007904
	v_pk_mul_f32 v[6:7], v[6:7], s[60:61]                      // 00000000711C: D3B14006 18007906
	v_exp_f32_e32 v4, v4                                       // 000000007124: 7E084104
	v_exp_f32_e32 v5, v5                                       // 000000007128: 7E0A4105
	v_exp_f32_e32 v6, v6                                       // 00000000712C: 7E0C4106
	v_exp_f32_e32 v7, v7                                       // 000000007130: 7E0E4107
	v_add_f32_e64 v4, v4, 1.0                                  // 000000007134: D1010004 0001E504
	v_add_f32_e64 v5, v5, 1.0                                  // 00000000713C: D1010005 0001E505
	v_add_f32_e64 v6, v6, 1.0                                  // 000000007144: D1010006 0001E506
	v_add_f32_e64 v7, v7, 1.0                                  // 00000000714C: D1010007 0001E507
	v_rcp_f32_e32 v4, v4                                       // 000000007154: 7E084504
	v_rcp_f32_e32 v5, v5                                       // 000000007158: 7E0A4505
	v_rcp_f32_e32 v6, v6                                       // 00000000715C: 7E0C4506
	v_rcp_f32_e32 v7, v7                                       // 000000007160: 7E0E4507
	v_mul_f32_e32 v52, v52, v4                                 // 000000007164: 0A680934
	v_mul_f32_e32 v53, v53, v5                                 // 000000007168: 0A6A0B35
	v_mul_f32_e32 v54, v54, v6                                 // 00000000716C: 0A6C0D36
	v_mul_f32_e32 v55, v55, v7                                 // 000000007170: 0A6E0F37
	v_mul_f32_e32 v52, v52, v76                                // 000000007174: 0A689934
	v_mul_f32_e32 v53, v53, v77                                // 000000007178: 0A6A9B35
	v_mul_f32_e32 v54, v54, v78                                // 00000000717C: 0A6C9D36
	v_mul_f32_e32 v55, v55, v79                                // 000000007180: 0A6E9F37
	v_pk_mul_f32 v[4:5], v[56:57], v[56:57]                    // 000000007184: D3B14004 18027138
	v_pk_mul_f32 v[6:7], v[58:59], v[58:59]                    // 00000000718C: D3B14006 1802753A
	v_pk_fma_f32 v[4:5], v[4:5], s[78:79], v[8:9]              // 000000007194: D3B04004 1C209D04
	v_pk_fma_f32 v[6:7], v[6:7], s[78:79], v[8:9]              // 00000000719C: D3B04006 1C209D06
	v_pk_mul_f32 v[4:5], v[4:5], v[56:57]                      // 0000000071A4: D3B14004 18027104
	v_pk_mul_f32 v[6:7], v[6:7], v[58:59]                      // 0000000071AC: D3B14006 18027506
	v_pk_mul_f32 v[4:5], v[4:5], s[60:61]                      // 0000000071B4: D3B14004 18007904
	v_pk_mul_f32 v[6:7], v[6:7], s[60:61]                      // 0000000071BC: D3B14006 18007906
	v_exp_f32_e32 v4, v4                                       // 0000000071C4: 7E084104
	v_exp_f32_e32 v5, v5                                       // 0000000071C8: 7E0A4105
	v_exp_f32_e32 v6, v6                                       // 0000000071CC: 7E0C4106
	v_exp_f32_e32 v7, v7                                       // 0000000071D0: 7E0E4107
	v_add_f32_e64 v4, v4, 1.0                                  // 0000000071D4: D1010004 0001E504
	v_add_f32_e64 v5, v5, 1.0                                  // 0000000071DC: D1010005 0001E505
	v_add_f32_e64 v6, v6, 1.0                                  // 0000000071E4: D1010006 0001E506
	v_add_f32_e64 v7, v7, 1.0                                  // 0000000071EC: D1010007 0001E507
	v_rcp_f32_e32 v4, v4                                       // 0000000071F4: 7E084504
	v_rcp_f32_e32 v5, v5                                       // 0000000071F8: 7E0A4505
	v_rcp_f32_e32 v6, v6                                       // 0000000071FC: 7E0C4506
	v_rcp_f32_e32 v7, v7                                       // 000000007200: 7E0E4507
	v_mul_f32_e32 v56, v56, v4                                 // 000000007204: 0A700938
	v_mul_f32_e32 v57, v57, v5                                 // 000000007208: 0A720B39
	v_mul_f32_e32 v58, v58, v6                                 // 00000000720C: 0A740D3A
	v_mul_f32_e32 v59, v59, v7                                 // 000000007210: 0A760F3B
	v_mul_f32_e32 v56, v56, v80                                // 000000007214: 0A70A138
	v_mul_f32_e32 v57, v57, v81                                // 000000007218: 0A72A339
	v_mul_f32_e32 v58, v58, v82                                // 00000000721C: 0A74A53A
	v_mul_f32_e32 v59, v59, v83                                // 000000007220: 0A76A73B
	v_pk_mul_f32 v[4:5], v[60:61], v[60:61]                    // 000000007224: D3B14004 1802793C
	v_pk_mul_f32 v[6:7], v[62:63], v[62:63]                    // 00000000722C: D3B14006 18027D3E
	v_pk_fma_f32 v[4:5], v[4:5], s[78:79], v[8:9]              // 000000007234: D3B04004 1C209D04
	v_pk_fma_f32 v[6:7], v[6:7], s[78:79], v[8:9]              // 00000000723C: D3B04006 1C209D06
	v_pk_mul_f32 v[4:5], v[4:5], v[60:61]                      // 000000007244: D3B14004 18027904
	v_pk_mul_f32 v[6:7], v[6:7], v[62:63]                      // 00000000724C: D3B14006 18027D06
	v_pk_mul_f32 v[4:5], v[4:5], s[60:61]                      // 000000007254: D3B14004 18007904
	v_pk_mul_f32 v[6:7], v[6:7], s[60:61]                      // 00000000725C: D3B14006 18007906
	v_exp_f32_e32 v4, v4                                       // 000000007264: 7E084104
	v_exp_f32_e32 v5, v5                                       // 000000007268: 7E0A4105
	v_exp_f32_e32 v6, v6                                       // 00000000726C: 7E0C4106
	v_exp_f32_e32 v7, v7                                       // 000000007270: 7E0E4107
	v_add_f32_e64 v4, v4, 1.0                                  // 000000007274: D1010004 0001E504
	v_add_f32_e64 v5, v5, 1.0                                  // 00000000727C: D1010005 0001E505
	v_add_f32_e64 v6, v6, 1.0                                  // 000000007284: D1010006 0001E506
	v_add_f32_e64 v7, v7, 1.0                                  // 00000000728C: D1010007 0001E507
	v_rcp_f32_e32 v4, v4                                       // 000000007294: 7E084504
	v_rcp_f32_e32 v5, v5                                       // 000000007298: 7E0A4505
	v_rcp_f32_e32 v6, v6                                       // 00000000729C: 7E0C4506
	v_rcp_f32_e32 v7, v7                                       // 0000000072A0: 7E0E4507
	v_mul_f32_e32 v60, v60, v4                                 // 0000000072A4: 0A78093C
	v_mul_f32_e32 v61, v61, v5                                 // 0000000072A8: 0A7A0B3D
	v_mul_f32_e32 v62, v62, v6                                 // 0000000072AC: 0A7C0D3E
	v_mul_f32_e32 v63, v63, v7                                 // 0000000072B0: 0A7E0F3F
	v_mul_f32_e32 v60, v60, v84                                // 0000000072B4: 0A78A93C
	v_mul_f32_e32 v61, v61, v85                                // 0000000072B8: 0A7AAB3D
	v_mul_f32_e32 v62, v62, v86                                // 0000000072BC: 0A7CAD3E
	v_mul_f32_e32 v63, v63, v87                                // 0000000072C0: 0A7EAF3F
	v_pk_mul_f32 v[4:5], v[64:65], v[64:65]                    // 0000000072C4: D3B14004 18028140
	v_pk_mul_f32 v[6:7], v[66:67], v[66:67]                    // 0000000072CC: D3B14006 18028542
	v_pk_fma_f32 v[4:5], v[4:5], s[78:79], v[8:9]              // 0000000072D4: D3B04004 1C209D04
	v_pk_fma_f32 v[6:7], v[6:7], s[78:79], v[8:9]              // 0000000072DC: D3B04006 1C209D06
	v_pk_mul_f32 v[4:5], v[4:5], v[64:65]                      // 0000000072E4: D3B14004 18028104
	v_pk_mul_f32 v[6:7], v[6:7], v[66:67]                      // 0000000072EC: D3B14006 18028506
	v_pk_mul_f32 v[4:5], v[4:5], s[60:61]                      // 0000000072F4: D3B14004 18007904
	v_pk_mul_f32 v[6:7], v[6:7], s[60:61]                      // 0000000072FC: D3B14006 18007906
	v_exp_f32_e32 v4, v4                                       // 000000007304: 7E084104
	v_exp_f32_e32 v5, v5                                       // 000000007308: 7E0A4105
	v_exp_f32_e32 v6, v6                                       // 00000000730C: 7E0C4106
	v_exp_f32_e32 v7, v7                                       // 000000007310: 7E0E4107
	v_add_f32_e64 v4, v4, 1.0                                  // 000000007314: D1010004 0001E504
	v_add_f32_e64 v5, v5, 1.0                                  // 00000000731C: D1010005 0001E505
	v_add_f32_e64 v6, v6, 1.0                                  // 000000007324: D1010006 0001E506
	v_add_f32_e64 v7, v7, 1.0                                  // 00000000732C: D1010007 0001E507
	v_rcp_f32_e32 v4, v4                                       // 000000007334: 7E084504
	v_rcp_f32_e32 v5, v5                                       // 000000007338: 7E0A4505
	v_rcp_f32_e32 v6, v6                                       // 00000000733C: 7E0C4506
	v_rcp_f32_e32 v7, v7                                       // 000000007340: 7E0E4507
	v_mul_f32_e32 v64, v64, v4                                 // 000000007344: 0A800940
	v_mul_f32_e32 v65, v65, v5                                 // 000000007348: 0A820B41
	v_mul_f32_e32 v66, v66, v6                                 // 00000000734C: 0A840D42
	v_mul_f32_e32 v67, v67, v7                                 // 000000007350: 0A860F43
	v_mul_f32_e32 v64, v64, v88                                // 000000007354: 0A80B140
	v_mul_f32_e32 v65, v65, v89                                // 000000007358: 0A82B341
	v_mul_f32_e32 v66, v66, v90                                // 00000000735C: 0A84B542
	v_mul_f32_e32 v67, v67, v91                                // 000000007360: 0A86B743
	v_pk_mul_f32 v[4:5], v[68:69], v[68:69]                    // 000000007364: D3B14004 18028944
	v_pk_mul_f32 v[6:7], v[70:71], v[70:71]                    // 00000000736C: D3B14006 18028D46
	v_pk_fma_f32 v[4:5], v[4:5], s[78:79], v[8:9]              // 000000007374: D3B04004 1C209D04
	v_pk_fma_f32 v[6:7], v[6:7], s[78:79], v[8:9]              // 00000000737C: D3B04006 1C209D06
	v_pk_mul_f32 v[4:5], v[4:5], v[68:69]                      // 000000007384: D3B14004 18028904
	v_pk_mul_f32 v[6:7], v[6:7], v[70:71]                      // 00000000738C: D3B14006 18028D06
	v_pk_mul_f32 v[4:5], v[4:5], s[60:61]                      // 000000007394: D3B14004 18007904
	v_pk_mul_f32 v[6:7], v[6:7], s[60:61]                      // 00000000739C: D3B14006 18007906
	v_exp_f32_e32 v4, v4                                       // 0000000073A4: 7E084104
	v_exp_f32_e32 v5, v5                                       // 0000000073A8: 7E0A4105
	v_exp_f32_e32 v6, v6                                       // 0000000073AC: 7E0C4106
	v_exp_f32_e32 v7, v7                                       // 0000000073B0: 7E0E4107
	v_add_f32_e64 v4, v4, 1.0                                  // 0000000073B4: D1010004 0001E504
	v_add_f32_e64 v5, v5, 1.0                                  // 0000000073BC: D1010005 0001E505
	v_add_f32_e64 v6, v6, 1.0                                  // 0000000073C4: D1010006 0001E506
	v_add_f32_e64 v7, v7, 1.0                                  // 0000000073CC: D1010007 0001E507
	v_rcp_f32_e32 v4, v4                                       // 0000000073D4: 7E084504
	v_rcp_f32_e32 v5, v5                                       // 0000000073D8: 7E0A4505
	v_rcp_f32_e32 v6, v6                                       // 0000000073DC: 7E0C4506
	v_rcp_f32_e32 v7, v7                                       // 0000000073E0: 7E0E4507
	v_mul_f32_e32 v68, v68, v4                                 // 0000000073E4: 0A880944
	v_mul_f32_e32 v69, v69, v5                                 // 0000000073E8: 0A8A0B45
	v_mul_f32_e32 v70, v70, v6                                 // 0000000073EC: 0A8C0D46
	v_mul_f32_e32 v71, v71, v7                                 // 0000000073F0: 0A8E0F47
	v_mul_f32_e32 v68, v68, v92                                // 0000000073F4: 0A88B944
	v_mul_f32_e32 v69, v69, v93                                // 0000000073F8: 0A8ABB45
	v_mul_f32_e32 v70, v70, v94                                // 0000000073FC: 0A8CBD46
	v_mul_f32_e32 v71, v71, v95                                // 000000007400: 0A8EBF47
	s_branch label_12C5                                        // 000000007404: BF8200C0

0000000000007408 <label_1205>:
	v_mul_f32_e64 v4, -v48, s6                                 // 000000007408: D1050004 20000D30
	v_mul_f32_e64 v5, -v49, s6                                 // 000000007410: D1050005 20000D31
	v_mul_f32_e64 v6, -v50, s6                                 // 000000007418: D1050006 20000D32
	v_mul_f32_e64 v7, -v51, s6                                 // 000000007420: D1050007 20000D33
	v_exp_f32_e32 v4, v4                                       // 000000007428: 7E084104
	v_exp_f32_e32 v5, v5                                       // 00000000742C: 7E0A4105
	v_exp_f32_e32 v6, v6                                       // 000000007430: 7E0C4106
	v_exp_f32_e32 v7, v7                                       // 000000007434: 7E0E4107
	v_add_f32_e64 v4, v4, 1.0                                  // 000000007438: D1010004 0001E504
	v_add_f32_e64 v5, v5, 1.0                                  // 000000007440: D1010005 0001E505
	v_add_f32_e64 v6, v6, 1.0                                  // 000000007448: D1010006 0001E506
	v_add_f32_e64 v7, v7, 1.0                                  // 000000007450: D1010007 0001E507
	v_rcp_f32_e32 v4, v4                                       // 000000007458: 7E084504
	v_rcp_f32_e32 v5, v5                                       // 00000000745C: 7E0A4505
	v_rcp_f32_e32 v6, v6                                       // 000000007460: 7E0C4506
	v_rcp_f32_e32 v7, v7                                       // 000000007464: 7E0E4507
	v_mul_f32_e32 v48, v48, v4                                 // 000000007468: 0A600930
	v_mul_f32_e32 v49, v49, v5                                 // 00000000746C: 0A620B31
	v_mul_f32_e32 v50, v50, v6                                 // 000000007470: 0A640D32
	v_mul_f32_e32 v51, v51, v7                                 // 000000007474: 0A660F33
	v_mul_f32_e32 v48, v48, v72                                // 000000007478: 0A609130
	v_mul_f32_e32 v49, v49, v73                                // 00000000747C: 0A629331
	v_mul_f32_e32 v50, v50, v74                                // 000000007480: 0A649532
	v_mul_f32_e32 v51, v51, v75                                // 000000007484: 0A669733
	v_mul_f32_e64 v4, -v52, s6                                 // 000000007488: D1050004 20000D34
	v_mul_f32_e64 v5, -v53, s6                                 // 000000007490: D1050005 20000D35
	v_mul_f32_e64 v6, -v54, s6                                 // 000000007498: D1050006 20000D36
	v_mul_f32_e64 v7, -v55, s6                                 // 0000000074A0: D1050007 20000D37
	v_exp_f32_e32 v4, v4                                       // 0000000074A8: 7E084104
	v_exp_f32_e32 v5, v5                                       // 0000000074AC: 7E0A4105
	v_exp_f32_e32 v6, v6                                       // 0000000074B0: 7E0C4106
	v_exp_f32_e32 v7, v7                                       // 0000000074B4: 7E0E4107
	v_add_f32_e64 v4, v4, 1.0                                  // 0000000074B8: D1010004 0001E504
	v_add_f32_e64 v5, v5, 1.0                                  // 0000000074C0: D1010005 0001E505
	v_add_f32_e64 v6, v6, 1.0                                  // 0000000074C8: D1010006 0001E506
	v_add_f32_e64 v7, v7, 1.0                                  // 0000000074D0: D1010007 0001E507
	v_rcp_f32_e32 v4, v4                                       // 0000000074D8: 7E084504
	v_rcp_f32_e32 v5, v5                                       // 0000000074DC: 7E0A4505
	v_rcp_f32_e32 v6, v6                                       // 0000000074E0: 7E0C4506
	v_rcp_f32_e32 v7, v7                                       // 0000000074E4: 7E0E4507
	v_mul_f32_e32 v52, v52, v4                                 // 0000000074E8: 0A680934
	v_mul_f32_e32 v53, v53, v5                                 // 0000000074EC: 0A6A0B35
	v_mul_f32_e32 v54, v54, v6                                 // 0000000074F0: 0A6C0D36
	v_mul_f32_e32 v55, v55, v7                                 // 0000000074F4: 0A6E0F37
	v_mul_f32_e32 v52, v52, v76                                // 0000000074F8: 0A689934
	v_mul_f32_e32 v53, v53, v77                                // 0000000074FC: 0A6A9B35
	v_mul_f32_e32 v54, v54, v78                                // 000000007500: 0A6C9D36
	v_mul_f32_e32 v55, v55, v79                                // 000000007504: 0A6E9F37
	v_mul_f32_e64 v4, -v56, s6                                 // 000000007508: D1050004 20000D38
	v_mul_f32_e64 v5, -v57, s6                                 // 000000007510: D1050005 20000D39
	v_mul_f32_e64 v6, -v58, s6                                 // 000000007518: D1050006 20000D3A
	v_mul_f32_e64 v7, -v59, s6                                 // 000000007520: D1050007 20000D3B
	v_exp_f32_e32 v4, v4                                       // 000000007528: 7E084104
	v_exp_f32_e32 v5, v5                                       // 00000000752C: 7E0A4105
	v_exp_f32_e32 v6, v6                                       // 000000007530: 7E0C4106
	v_exp_f32_e32 v7, v7                                       // 000000007534: 7E0E4107
	v_add_f32_e64 v4, v4, 1.0                                  // 000000007538: D1010004 0001E504
	v_add_f32_e64 v5, v5, 1.0                                  // 000000007540: D1010005 0001E505
	v_add_f32_e64 v6, v6, 1.0                                  // 000000007548: D1010006 0001E506
	v_add_f32_e64 v7, v7, 1.0                                  // 000000007550: D1010007 0001E507
	v_rcp_f32_e32 v4, v4                                       // 000000007558: 7E084504
	v_rcp_f32_e32 v5, v5                                       // 00000000755C: 7E0A4505
	v_rcp_f32_e32 v6, v6                                       // 000000007560: 7E0C4506
	v_rcp_f32_e32 v7, v7                                       // 000000007564: 7E0E4507
	v_mul_f32_e32 v56, v56, v4                                 // 000000007568: 0A700938
	v_mul_f32_e32 v57, v57, v5                                 // 00000000756C: 0A720B39
	v_mul_f32_e32 v58, v58, v6                                 // 000000007570: 0A740D3A
	v_mul_f32_e32 v59, v59, v7                                 // 000000007574: 0A760F3B
	v_mul_f32_e32 v56, v56, v80                                // 000000007578: 0A70A138
	v_mul_f32_e32 v57, v57, v81                                // 00000000757C: 0A72A339
	v_mul_f32_e32 v58, v58, v82                                // 000000007580: 0A74A53A
	v_mul_f32_e32 v59, v59, v83                                // 000000007584: 0A76A73B
	v_mul_f32_e64 v4, -v60, s6                                 // 000000007588: D1050004 20000D3C
	v_mul_f32_e64 v5, -v61, s6                                 // 000000007590: D1050005 20000D3D
	v_mul_f32_e64 v6, -v62, s6                                 // 000000007598: D1050006 20000D3E
	v_mul_f32_e64 v7, -v63, s6                                 // 0000000075A0: D1050007 20000D3F
	v_exp_f32_e32 v4, v4                                       // 0000000075A8: 7E084104
	v_exp_f32_e32 v5, v5                                       // 0000000075AC: 7E0A4105
	v_exp_f32_e32 v6, v6                                       // 0000000075B0: 7E0C4106
	v_exp_f32_e32 v7, v7                                       // 0000000075B4: 7E0E4107
	v_add_f32_e64 v4, v4, 1.0                                  // 0000000075B8: D1010004 0001E504
	v_add_f32_e64 v5, v5, 1.0                                  // 0000000075C0: D1010005 0001E505
	v_add_f32_e64 v6, v6, 1.0                                  // 0000000075C8: D1010006 0001E506
	v_add_f32_e64 v7, v7, 1.0                                  // 0000000075D0: D1010007 0001E507
	v_rcp_f32_e32 v4, v4                                       // 0000000075D8: 7E084504
	v_rcp_f32_e32 v5, v5                                       // 0000000075DC: 7E0A4505
	v_rcp_f32_e32 v6, v6                                       // 0000000075E0: 7E0C4506
	v_rcp_f32_e32 v7, v7                                       // 0000000075E4: 7E0E4507
	v_mul_f32_e32 v60, v60, v4                                 // 0000000075E8: 0A78093C
	v_mul_f32_e32 v61, v61, v5                                 // 0000000075EC: 0A7A0B3D
	v_mul_f32_e32 v62, v62, v6                                 // 0000000075F0: 0A7C0D3E
	v_mul_f32_e32 v63, v63, v7                                 // 0000000075F4: 0A7E0F3F
	v_mul_f32_e32 v60, v60, v84                                // 0000000075F8: 0A78A93C
	v_mul_f32_e32 v61, v61, v85                                // 0000000075FC: 0A7AAB3D
	v_mul_f32_e32 v62, v62, v86                                // 000000007600: 0A7CAD3E
	v_mul_f32_e32 v63, v63, v87                                // 000000007604: 0A7EAF3F
	v_mul_f32_e64 v4, -v64, s6                                 // 000000007608: D1050004 20000D40
	v_mul_f32_e64 v5, -v65, s6                                 // 000000007610: D1050005 20000D41
	v_mul_f32_e64 v6, -v66, s6                                 // 000000007618: D1050006 20000D42
	v_mul_f32_e64 v7, -v67, s6                                 // 000000007620: D1050007 20000D43
	v_exp_f32_e32 v4, v4                                       // 000000007628: 7E084104
	v_exp_f32_e32 v5, v5                                       // 00000000762C: 7E0A4105
	v_exp_f32_e32 v6, v6                                       // 000000007630: 7E0C4106
	v_exp_f32_e32 v7, v7                                       // 000000007634: 7E0E4107
	v_add_f32_e64 v4, v4, 1.0                                  // 000000007638: D1010004 0001E504
	v_add_f32_e64 v5, v5, 1.0                                  // 000000007640: D1010005 0001E505
	v_add_f32_e64 v6, v6, 1.0                                  // 000000007648: D1010006 0001E506
	v_add_f32_e64 v7, v7, 1.0                                  // 000000007650: D1010007 0001E507
	v_rcp_f32_e32 v4, v4                                       // 000000007658: 7E084504
	v_rcp_f32_e32 v5, v5                                       // 00000000765C: 7E0A4505
	v_rcp_f32_e32 v6, v6                                       // 000000007660: 7E0C4506
	v_rcp_f32_e32 v7, v7                                       // 000000007664: 7E0E4507
	v_mul_f32_e32 v64, v64, v4                                 // 000000007668: 0A800940
	v_mul_f32_e32 v65, v65, v5                                 // 00000000766C: 0A820B41
	v_mul_f32_e32 v66, v66, v6                                 // 000000007670: 0A840D42
	v_mul_f32_e32 v67, v67, v7                                 // 000000007674: 0A860F43
	v_mul_f32_e32 v64, v64, v88                                // 000000007678: 0A80B140
	v_mul_f32_e32 v65, v65, v89                                // 00000000767C: 0A82B341
	v_mul_f32_e32 v66, v66, v90                                // 000000007680: 0A84B542
	v_mul_f32_e32 v67, v67, v91                                // 000000007684: 0A86B743
	v_mul_f32_e64 v4, -v68, s6                                 // 000000007688: D1050004 20000D44
	v_mul_f32_e64 v5, -v69, s6                                 // 000000007690: D1050005 20000D45
	v_mul_f32_e64 v6, -v70, s6                                 // 000000007698: D1050006 20000D46
	v_mul_f32_e64 v7, -v71, s6                                 // 0000000076A0: D1050007 20000D47
	v_exp_f32_e32 v4, v4                                       // 0000000076A8: 7E084104
	v_exp_f32_e32 v5, v5                                       // 0000000076AC: 7E0A4105
	v_exp_f32_e32 v6, v6                                       // 0000000076B0: 7E0C4106
	v_exp_f32_e32 v7, v7                                       // 0000000076B4: 7E0E4107
	v_add_f32_e64 v4, v4, 1.0                                  // 0000000076B8: D1010004 0001E504
	v_add_f32_e64 v5, v5, 1.0                                  // 0000000076C0: D1010005 0001E505
	v_add_f32_e64 v6, v6, 1.0                                  // 0000000076C8: D1010006 0001E506
	v_add_f32_e64 v7, v7, 1.0                                  // 0000000076D0: D1010007 0001E507
	v_rcp_f32_e32 v4, v4                                       // 0000000076D8: 7E084504
	v_rcp_f32_e32 v5, v5                                       // 0000000076DC: 7E0A4505
	v_rcp_f32_e32 v6, v6                                       // 0000000076E0: 7E0C4506
	v_rcp_f32_e32 v7, v7                                       // 0000000076E4: 7E0E4507
	v_mul_f32_e32 v68, v68, v4                                 // 0000000076E8: 0A880944
	v_mul_f32_e32 v69, v69, v5                                 // 0000000076EC: 0A8A0B45
	v_mul_f32_e32 v70, v70, v6                                 // 0000000076F0: 0A8C0D46
	v_mul_f32_e32 v71, v71, v7                                 // 0000000076F4: 0A8E0F47
	v_mul_f32_e32 v68, v68, v92                                // 0000000076F8: 0A88B944
	v_mul_f32_e32 v69, v69, v93                                // 0000000076FC: 0A8ABB45
	v_mul_f32_e32 v70, v70, v94                                // 000000007700: 0A8CBD46
	v_mul_f32_e32 v71, v71, v95                                // 000000007704: 0A8EBF47

0000000000007708 <label_12C5>:
	v_cmp_u_f32_e64 s[46:47], v48, v48                         // 000000007708: D048002E 00026130
	v_add3_u32 v16, v48, v19, 1                                // 000000007710: D1FF0010 02062730
	v_cndmask_b32_e64 v4, v16, v18, s[46:47]                   // 000000007718: D1000004 00BA2510
	v_cmp_u_f32_e64 s[46:47], v49, v49                         // 000000007720: D048002E 00026331
	v_add3_u32 v16, v49, v19, 1                                // 000000007728: D1FF0010 02062731
	v_cndmask_b32_e64 v5, v16, v18, s[46:47]                   // 000000007730: D1000005 00BA2510
	v_perm_b32 v48, v5, v4, s52                                // 000000007738: D1ED0030 00D20905
	v_cmp_u_f32_e64 s[46:47], v50, v50                         // 000000007740: D048002E 00026532
	v_add3_u32 v16, v50, v19, 1                                // 000000007748: D1FF0010 02062732
	v_cndmask_b32_e64 v4, v16, v18, s[46:47]                   // 000000007750: D1000004 00BA2510
	v_cmp_u_f32_e64 s[46:47], v51, v51                         // 000000007758: D048002E 00026733
	v_add3_u32 v16, v51, v19, 1                                // 000000007760: D1FF0010 02062733
	v_cndmask_b32_e64 v5, v16, v18, s[46:47]                   // 000000007768: D1000005 00BA2510
	v_perm_b32 v49, v5, v4, s52                                // 000000007770: D1ED0031 00D20905
	v_cmp_u_f32_e64 s[46:47], v52, v52                         // 000000007778: D048002E 00026934
	v_add3_u32 v16, v52, v19, 1                                // 000000007780: D1FF0010 02062734
	v_cndmask_b32_e64 v4, v16, v18, s[46:47]                   // 000000007788: D1000004 00BA2510
	v_cmp_u_f32_e64 s[46:47], v53, v53                         // 000000007790: D048002E 00026B35
	v_add3_u32 v16, v53, v19, 1                                // 000000007798: D1FF0010 02062735
	v_cndmask_b32_e64 v5, v16, v18, s[46:47]                   // 0000000077A0: D1000005 00BA2510
	v_perm_b32 v50, v5, v4, s52                                // 0000000077A8: D1ED0032 00D20905
	v_cmp_u_f32_e64 s[46:47], v54, v54                         // 0000000077B0: D048002E 00026D36
	v_add3_u32 v16, v54, v19, 1                                // 0000000077B8: D1FF0010 02062736
	v_cndmask_b32_e64 v4, v16, v18, s[46:47]                   // 0000000077C0: D1000004 00BA2510
	v_cmp_u_f32_e64 s[46:47], v55, v55                         // 0000000077C8: D048002E 00026F37
	v_add3_u32 v16, v55, v19, 1                                // 0000000077D0: D1FF0010 02062737
	v_cndmask_b32_e64 v5, v16, v18, s[46:47]                   // 0000000077D8: D1000005 00BA2510
	v_perm_b32 v51, v5, v4, s52                                // 0000000077E0: D1ED0033 00D20905
	v_cmp_u_f32_e64 s[46:47], v56, v56                         // 0000000077E8: D048002E 00027138
	v_add3_u32 v16, v56, v19, 1                                // 0000000077F0: D1FF0010 02062738
	v_cndmask_b32_e64 v4, v16, v18, s[46:47]                   // 0000000077F8: D1000004 00BA2510
	v_cmp_u_f32_e64 s[46:47], v57, v57                         // 000000007800: D048002E 00027339
	v_add3_u32 v16, v57, v19, 1                                // 000000007808: D1FF0010 02062739
	v_cndmask_b32_e64 v5, v16, v18, s[46:47]                   // 000000007810: D1000005 00BA2510
	v_perm_b32 v52, v5, v4, s52                                // 000000007818: D1ED0034 00D20905
	v_cmp_u_f32_e64 s[46:47], v58, v58                         // 000000007820: D048002E 0002753A
	v_add3_u32 v16, v58, v19, 1                                // 000000007828: D1FF0010 0206273A
	v_cndmask_b32_e64 v4, v16, v18, s[46:47]                   // 000000007830: D1000004 00BA2510
	v_cmp_u_f32_e64 s[46:47], v59, v59                         // 000000007838: D048002E 0002773B
	v_add3_u32 v16, v59, v19, 1                                // 000000007840: D1FF0010 0206273B
	v_cndmask_b32_e64 v5, v16, v18, s[46:47]                   // 000000007848: D1000005 00BA2510
	v_perm_b32 v53, v5, v4, s52                                // 000000007850: D1ED0035 00D20905
	v_cmp_u_f32_e64 s[46:47], v60, v60                         // 000000007858: D048002E 0002793C
	v_add3_u32 v16, v60, v19, 1                                // 000000007860: D1FF0010 0206273C
	v_cndmask_b32_e64 v4, v16, v18, s[46:47]                   // 000000007868: D1000004 00BA2510
	v_cmp_u_f32_e64 s[46:47], v61, v61                         // 000000007870: D048002E 00027B3D
	v_add3_u32 v16, v61, v19, 1                                // 000000007878: D1FF0010 0206273D
	v_cndmask_b32_e64 v5, v16, v18, s[46:47]                   // 000000007880: D1000005 00BA2510
	v_perm_b32 v54, v5, v4, s52                                // 000000007888: D1ED0036 00D20905
	v_cmp_u_f32_e64 s[46:47], v62, v62                         // 000000007890: D048002E 00027D3E
	v_add3_u32 v16, v62, v19, 1                                // 000000007898: D1FF0010 0206273E
	v_cndmask_b32_e64 v4, v16, v18, s[46:47]                   // 0000000078A0: D1000004 00BA2510
	v_cmp_u_f32_e64 s[46:47], v63, v63                         // 0000000078A8: D048002E 00027F3F
	v_add3_u32 v16, v63, v19, 1                                // 0000000078B0: D1FF0010 0206273F
	v_cndmask_b32_e64 v5, v16, v18, s[46:47]                   // 0000000078B8: D1000005 00BA2510
	v_perm_b32 v55, v5, v4, s52                                // 0000000078C0: D1ED0037 00D20905
	v_cmp_u_f32_e64 s[46:47], v64, v64                         // 0000000078C8: D048002E 00028140
	v_add3_u32 v16, v64, v19, 1                                // 0000000078D0: D1FF0010 02062740
	v_cndmask_b32_e64 v4, v16, v18, s[46:47]                   // 0000000078D8: D1000004 00BA2510
	v_cmp_u_f32_e64 s[46:47], v65, v65                         // 0000000078E0: D048002E 00028341
	v_add3_u32 v16, v65, v19, 1                                // 0000000078E8: D1FF0010 02062741
	v_cndmask_b32_e64 v5, v16, v18, s[46:47]                   // 0000000078F0: D1000005 00BA2510
	v_perm_b32 v56, v5, v4, s52                                // 0000000078F8: D1ED0038 00D20905
	v_cmp_u_f32_e64 s[46:47], v66, v66                         // 000000007900: D048002E 00028542
	v_add3_u32 v16, v66, v19, 1                                // 000000007908: D1FF0010 02062742
	v_cndmask_b32_e64 v4, v16, v18, s[46:47]                   // 000000007910: D1000004 00BA2510
	v_cmp_u_f32_e64 s[46:47], v67, v67                         // 000000007918: D048002E 00028743
	v_add3_u32 v16, v67, v19, 1                                // 000000007920: D1FF0010 02062743
	v_cndmask_b32_e64 v5, v16, v18, s[46:47]                   // 000000007928: D1000005 00BA2510
	v_perm_b32 v57, v5, v4, s52                                // 000000007930: D1ED0039 00D20905
	v_cmp_u_f32_e64 s[46:47], v68, v68                         // 000000007938: D048002E 00028944
	v_add3_u32 v16, v68, v19, 1                                // 000000007940: D1FF0010 02062744
	v_cndmask_b32_e64 v4, v16, v18, s[46:47]                   // 000000007948: D1000004 00BA2510
	v_cmp_u_f32_e64 s[46:47], v69, v69                         // 000000007950: D048002E 00028B45
	v_add3_u32 v16, v69, v19, 1                                // 000000007958: D1FF0010 02062745
	v_cndmask_b32_e64 v5, v16, v18, s[46:47]                   // 000000007960: D1000005 00BA2510
	v_perm_b32 v58, v5, v4, s52                                // 000000007968: D1ED003A 00D20905
	v_cmp_u_f32_e64 s[46:47], v70, v70                         // 000000007970: D048002E 00028D46
	v_add3_u32 v16, v70, v19, 1                                // 000000007978: D1FF0010 02062746
	v_cndmask_b32_e64 v4, v16, v18, s[46:47]                   // 000000007980: D1000004 00BA2510
	v_cmp_u_f32_e64 s[46:47], v71, v71                         // 000000007988: D048002E 00028F47
	v_add3_u32 v16, v71, v19, 1                                // 000000007990: D1FF0010 02062747
	v_cndmask_b32_e64 v5, v16, v18, s[46:47]                   // 000000007998: D1000005 00BA2510
	v_perm_b32 v59, v5, v4, s52                                // 0000000079A0: D1ED003B 00D20905
	ds_write_b64 v20, v[48:49]                                 // 0000000079A8: D89A0000 00003014
	ds_write_b64 v20, v[50:51] offset:6528                     // 0000000079B0: D89A1980 00003214
	ds_write_b64 v20, v[52:53] offset:2176                     // 0000000079B8: D89A0880 00003414
	ds_write_b64 v20, v[54:55] offset:8704                     // 0000000079C0: D89A2200 00003614
	ds_write_b64 v20, v[56:57] offset:4352                     // 0000000079C8: D89A1100 00003814
	ds_write_b64 v20, v[58:59] offset:10880                    // 0000000079D0: D89A2A80 00003A14
	v_lshrrev_b32_e32 v4, 5, v0                                // 0000000079D8: 20080085
	v_xor_b32_e32 v5, 1, v4                                    // 0000000079DC: 2A0A0881
	s_mul_i32 s60, s65, 2                                      // 0000000079E0: 923C8241
	s_cmp_eq_u32 s88, 0                                        // 0000000079E4: BF068058
	s_cselect_b32 s61, 1, 4                                    // 0000000079E8: 853D8481
	s_mul_i32 s60, s61, s60                                    // 0000000079EC: 923C3C3D
	v_readlane_b32 s82, v3, 0                                  // 0000000079F0: D2890052 00010103
	s_lshr_b32 s61, s82, 24                                    // 0000000079F8: 8F3D9852
	s_and_b32 s82, s82, 0xffffff                               // 0000000079FC: 8652FF52 00FFFFFF
	s_mul_i32 s82, s82, s71                                    // 000000007A04: 92524752
	s_mul_i32 s61, s60, s61                                    // 000000007A08: 923D3D3C
	s_add_u32 s82, s82, s61                                    // 000000007A0C: 80523D52
	v_mul_lo_u32 v6, v5, s82                                   // 000000007A10: D2850006 0000A505
	v_readlane_b32 s82, v3, 1                                  // 000000007A18: D2890052 00010303
	s_lshr_b32 s61, s82, 24                                    // 000000007A20: 8F3D9852
	s_and_b32 s82, s82, 0xffffff                               // 000000007A24: 8652FF52 00FFFFFF
	s_mul_i32 s82, s82, s71                                    // 000000007A2C: 92524752
	s_mul_i32 s61, s60, s61                                    // 000000007A30: 923D3D3C
	s_add_u32 s82, s82, s61                                    // 000000007A34: 80523D52
	v_mul_lo_u32 v7, v4, s82                                   // 000000007A38: D2850007 0000A504
	v_add_u32_e32 v38, v6, v7                                  // 000000007A40: 684C0F06
	v_readlane_b32 s82, v3, 2                                  // 000000007A44: D2890052 00010503
	s_lshr_b32 s61, s82, 24                                    // 000000007A4C: 8F3D9852
	s_and_b32 s82, s82, 0xffffff                               // 000000007A50: 8652FF52 00FFFFFF
	s_mul_i32 s82, s82, s71                                    // 000000007A58: 92524752
	s_mul_i32 s61, s60, s61                                    // 000000007A5C: 923D3D3C
	s_add_u32 s82, s82, s61                                    // 000000007A60: 80523D52
	v_mul_lo_u32 v6, v5, s82                                   // 000000007A64: D2850006 0000A505
	v_readlane_b32 s82, v3, 3                                  // 000000007A6C: D2890052 00010703
	s_lshr_b32 s61, s82, 24                                    // 000000007A74: 8F3D9852
	s_and_b32 s82, s82, 0xffffff                               // 000000007A78: 8652FF52 00FFFFFF
	s_mul_i32 s82, s82, s71                                    // 000000007A80: 92524752
	s_mul_i32 s61, s60, s61                                    // 000000007A84: 923D3D3C
	s_add_u32 s82, s82, s61                                    // 000000007A88: 80523D52
	v_mul_lo_u32 v7, v4, s82                                   // 000000007A8C: D2850007 0000A504
	v_add_u32_e32 v39, v6, v7                                  // 000000007A94: 684E0F06
	v_readlane_b32 s82, v3, 4                                  // 000000007A98: D2890052 00010903
	s_lshr_b32 s61, s82, 24                                    // 000000007AA0: 8F3D9852
	s_and_b32 s82, s82, 0xffffff                               // 000000007AA4: 8652FF52 00FFFFFF
	s_mul_i32 s82, s82, s71                                    // 000000007AAC: 92524752
	s_mul_i32 s61, s60, s61                                    // 000000007AB0: 923D3D3C
	s_add_u32 s82, s82, s61                                    // 000000007AB4: 80523D52
	v_mul_lo_u32 v6, v5, s82                                   // 000000007AB8: D2850006 0000A505
	v_readlane_b32 s82, v3, 5                                  // 000000007AC0: D2890052 00010B03
	s_lshr_b32 s61, s82, 24                                    // 000000007AC8: 8F3D9852
	s_and_b32 s82, s82, 0xffffff                               // 000000007ACC: 8652FF52 00FFFFFF
	s_mul_i32 s82, s82, s71                                    // 000000007AD4: 92524752
	s_mul_i32 s61, s60, s61                                    // 000000007AD8: 923D3D3C
	s_add_u32 s82, s82, s61                                    // 000000007ADC: 80523D52
	v_mul_lo_u32 v7, v4, s82                                   // 000000007AE0: D2850007 0000A504
	v_add_u32_e32 v40, v6, v7                                  // 000000007AE8: 68500F06
	v_readlane_b32 s82, v3, 6                                  // 000000007AEC: D2890052 00010D03
	s_lshr_b32 s61, s82, 24                                    // 000000007AF4: 8F3D9852
	s_and_b32 s82, s82, 0xffffff                               // 000000007AF8: 8652FF52 00FFFFFF
	s_mul_i32 s82, s82, s71                                    // 000000007B00: 92524752
	s_mul_i32 s61, s60, s61                                    // 000000007B04: 923D3D3C
	s_add_u32 s82, s82, s61                                    // 000000007B08: 80523D52
	v_mul_lo_u32 v6, v5, s82                                   // 000000007B0C: D2850006 0000A505
	v_readlane_b32 s82, v3, 7                                  // 000000007B14: D2890052 00010F03
	s_lshr_b32 s61, s82, 24                                    // 000000007B1C: 8F3D9852
	s_and_b32 s82, s82, 0xffffff                               // 000000007B20: 8652FF52 00FFFFFF
	s_mul_i32 s82, s82, s71                                    // 000000007B28: 92524752
	s_mul_i32 s61, s60, s61                                    // 000000007B2C: 923D3D3C
	s_add_u32 s82, s82, s61                                    // 000000007B30: 80523D52
	v_mul_lo_u32 v7, v4, s82                                   // 000000007B34: D2850007 0000A504
	v_add_u32_e32 v41, v6, v7                                  // 000000007B3C: 68520F06
	v_and_b32_e32 v4, 31, v0                                   // 000000007B40: 2608009F
	v_lshrrev_b32_e32 v4, 1, v4                                // 000000007B44: 20080881
	s_cmp_eq_u32 s88, 0                                        // 000000007B48: BF068058
	s_cselect_b32 s61, 2, 4                                    // 000000007B4C: 853D8482
	v_mul_lo_u32 v4, v4, s61                                   // 000000007B50: D2850004 00007B04
	v_and_b32_e64 v5, v0, 1                                    // 000000007B58: D1130005 00010300
	v_add_u32_e32 v4, v4, v5                                   // 000000007B60: 68080B04
	v_lshlrev_b32_e32 v4, 2, v4                                // 000000007B64: 24080882
	v_add_u32_e32 v38, v38, v4                                 // 000000007B68: 684C0926
	v_add_u32_e32 v39, v39, v4                                 // 000000007B6C: 684E0927
	v_add_u32_e32 v40, v40, v4                                 // 000000007B70: 68500928
	v_add_u32_e32 v41, v41, v4                                 // 000000007B74: 68520929
	s_waitcnt lgkmcnt(0)                                       // 000000007B78: BF8CC07F
	s_barrier                                                  // 000000007B7C: BF8A0000
	ds_read_b32 v48, v21                                       // 000000007B80: D86C0000 30000015
	ds_read_b32 v49, v21 offset:64                             // 000000007B88: D86C0040 31000015
	ds_read_b32 v50, v21 offset:2176                           // 000000007B90: D86C0880 32000015
	ds_read_b32 v51, v21 offset:2240                           // 000000007B98: D86C08C0 33000015
	ds_read_b32 v52, v21 offset:4352                           // 000000007BA0: D86C1100 34000015
	ds_read_b32 v53, v21 offset:4416                           // 000000007BA8: D86C1140 35000015
	ds_read_b32 v54, v21 offset:6528                           // 000000007BB0: D86C1980 36000015
	ds_read_b32 v55, v21 offset:6592                           // 000000007BB8: D86C19C0 37000015
	ds_read_b32 v56, v21 offset:8704                           // 000000007BC0: D86C2200 38000015
	ds_read_b32 v57, v21 offset:8768                           // 000000007BC8: D86C2240 39000015
	ds_read_b32 v58, v21 offset:10880                          // 000000007BD0: D86C2A80 3A000015
	ds_read_b32 v59, v21 offset:10944                          // 000000007BD8: D86C2AC0 3B000015
	s_waitcnt lgkmcnt(0)                                       // 000000007BE0: BF8CC07F
	s_mov_b32 s36, -1                                          // 000000007BE4: BEA400C1
	s_mov_b32 s37, -1                                          // 000000007BE8: BEA500C1
	v_mov_b32_e32 v7, 0                                        // 000000007BEC: 7E0E0280
	s_or_b32 s9, s9, 0x40000                                   // 000000007BF0: 8709FF09 00040000
	s_mov_b64 exec, s[36:37]                                   // 000000007BF8: BEFE0124
	v_mov_b32_e32 v6, v38                                      // 000000007BFC: 7E0C0326
	s_mov_b64 s[60:61], 0                                      // 000000007C00: BEBC0180
	v_readlane_b32 s82, v3, 0                                  // 000000007C04: D2890052 00010103
	s_and_b32 s82, s82, 0xffffff                               // 000000007C0C: 8652FF52 00FFFFFF
	s_cmp_lt_u32 s82, s66                                      // 000000007C14: BF0A4252
	s_cselect_b32 s20, s36, s60                                // 000000007C18: 85143C24
	v_readlane_b32 s82, v3, 1                                  // 000000007C1C: D2890052 00010303
	s_and_b32 s82, s82, 0xffffff                               // 000000007C24: 8652FF52 00FFFFFF
	s_cmp_lt_u32 s82, s66                                      // 000000007C2C: BF0A4252
	s_cselect_b32 s21, s36, s60                                // 000000007C30: 85153C24
	s_mov_b64 exec, s[20:21]                                   // 000000007C34: BEFE0114
	buffer_store_dword v48, v6, s[8:11], 0 offen               // 000000007C38: E0701000 80023006
	buffer_store_dword v50, v6, s[8:11], 0 offen offset:128    // 000000007C40: E0701080 80023206
	buffer_store_dword v52, v6, s[8:11], 0 offen offset:256    // 000000007C48: E0701100 80023406
	s_mov_b64 exec, s[36:37]                                   // 000000007C50: BEFE0124
	v_mov_b32_e32 v6, v39                                      // 000000007C54: 7E0C0327
	s_mov_b64 s[60:61], 0                                      // 000000007C58: BEBC0180
	v_readlane_b32 s82, v3, 2                                  // 000000007C5C: D2890052 00010503
	s_and_b32 s82, s82, 0xffffff                               // 000000007C64: 8652FF52 00FFFFFF
	s_cmp_lt_u32 s82, s66                                      // 000000007C6C: BF0A4252
	s_cselect_b32 s20, s36, s60                                // 000000007C70: 85143C24
	v_readlane_b32 s82, v3, 3                                  // 000000007C74: D2890052 00010703
	s_and_b32 s82, s82, 0xffffff                               // 000000007C7C: 8652FF52 00FFFFFF
	s_cmp_lt_u32 s82, s66                                      // 000000007C84: BF0A4252
	s_cselect_b32 s21, s36, s60                                // 000000007C88: 85153C24
	s_mov_b64 exec, s[20:21]                                   // 000000007C8C: BEFE0114
	buffer_store_dword v49, v6, s[8:11], 0 offen               // 000000007C90: E0701000 80023106
	buffer_store_dword v51, v6, s[8:11], 0 offen offset:128    // 000000007C98: E0701080 80023306
	buffer_store_dword v53, v6, s[8:11], 0 offen offset:256    // 000000007CA0: E0701100 80023506
	s_mov_b64 exec, s[36:37]                                   // 000000007CA8: BEFE0124
	v_mov_b32_e32 v6, v40                                      // 000000007CAC: 7E0C0328
	s_mov_b64 s[60:61], 0                                      // 000000007CB0: BEBC0180
	v_readlane_b32 s82, v3, 4                                  // 000000007CB4: D2890052 00010903
	s_and_b32 s82, s82, 0xffffff                               // 000000007CBC: 8652FF52 00FFFFFF
	s_cmp_lt_u32 s82, s66                                      // 000000007CC4: BF0A4252
	s_cselect_b32 s20, s36, s60                                // 000000007CC8: 85143C24
	v_readlane_b32 s82, v3, 5                                  // 000000007CCC: D2890052 00010B03
	s_and_b32 s82, s82, 0xffffff                               // 000000007CD4: 8652FF52 00FFFFFF
	s_cmp_lt_u32 s82, s66                                      // 000000007CDC: BF0A4252
	s_cselect_b32 s21, s36, s60                                // 000000007CE0: 85153C24
	s_mov_b64 exec, s[20:21]                                   // 000000007CE4: BEFE0114
	buffer_store_dword v54, v6, s[8:11], 0 offen               // 000000007CE8: E0701000 80023606
	buffer_store_dword v56, v6, s[8:11], 0 offen offset:128    // 000000007CF0: E0701080 80023806
	buffer_store_dword v58, v6, s[8:11], 0 offen offset:256    // 000000007CF8: E0701100 80023A06
	s_mov_b64 exec, s[36:37]                                   // 000000007D00: BEFE0124
	v_mov_b32_e32 v6, v41                                      // 000000007D04: 7E0C0329
	s_mov_b64 s[60:61], 0                                      // 000000007D08: BEBC0180
	v_readlane_b32 s82, v3, 6                                  // 000000007D0C: D2890052 00010D03
	s_and_b32 s82, s82, 0xffffff                               // 000000007D14: 8652FF52 00FFFFFF
	s_cmp_lt_u32 s82, s66                                      // 000000007D1C: BF0A4252
	s_cselect_b32 s20, s36, s60                                // 000000007D20: 85143C24
	v_readlane_b32 s82, v3, 7                                  // 000000007D24: D2890052 00010F03
	s_and_b32 s82, s82, 0xffffff                               // 000000007D2C: 8652FF52 00FFFFFF
	s_cmp_lt_u32 s82, s66                                      // 000000007D34: BF0A4252
	s_cselect_b32 s21, s36, s60                                // 000000007D38: 85153C24
	s_mov_b64 exec, s[20:21]                                   // 000000007D3C: BEFE0114
	buffer_store_dword v55, v6, s[8:11], 0 offen               // 000000007D40: E0701000 80023706
	buffer_store_dword v57, v6, s[8:11], 0 offen offset:128    // 000000007D48: E0701080 80023906
	buffer_store_dword v59, v6, s[8:11], 0 offen offset:256    // 000000007D50: E0701100 80023B06
	s_mov_b64 exec, s[36:37]                                   // 000000007D58: BEFE0124
	s_branch label_16CD                                        // 000000007D5C: BF820272

0000000000007d60 <label_145B>:
	ds_write_b64 v20, v[48:49]                                 // 000000007D60: D89A0000 00003014
	ds_write_b64 v20, v[52:53] offset:6528                     // 000000007D68: D89A1980 00003414
	ds_write_b64 v20, v[56:57] offset:2176                     // 000000007D70: D89A0880 00003814
	ds_write_b64 v20, v[60:61] offset:8704                     // 000000007D78: D89A2200 00003C14
	ds_write_b64 v20, v[64:65] offset:4352                     // 000000007D80: D89A1100 00004014
	ds_write_b64 v20, v[68:69] offset:10880                    // 000000007D88: D89A2A80 00004414
	v_lshrrev_b32_e32 v4, 5, v0                                // 000000007D90: 20080085
	v_xor_b32_e32 v5, 1, v4                                    // 000000007D94: 2A0A0881
	s_mul_i32 s60, s65, 2                                      // 000000007D98: 923C8241
	s_cmp_eq_u32 s88, 0                                        // 000000007D9C: BF068058
	s_cselect_b32 s61, 1, 4                                    // 000000007DA0: 853D8481
	s_mul_i32 s60, s61, s60                                    // 000000007DA4: 923C3C3D
	v_readlane_b32 s82, v3, 0                                  // 000000007DA8: D2890052 00010103
	s_lshr_b32 s61, s82, 24                                    // 000000007DB0: 8F3D9852
	s_and_b32 s82, s82, 0xffffff                               // 000000007DB4: 8652FF52 00FFFFFF
	s_mul_i32 s82, s82, s71                                    // 000000007DBC: 92524752
	s_mul_i32 s61, s60, s61                                    // 000000007DC0: 923D3D3C
	s_add_u32 s82, s82, s61                                    // 000000007DC4: 80523D52
	v_mul_lo_u32 v6, v5, s82                                   // 000000007DC8: D2850006 0000A505
	v_readlane_b32 s82, v3, 1                                  // 000000007DD0: D2890052 00010303
	s_lshr_b32 s61, s82, 24                                    // 000000007DD8: 8F3D9852
	s_and_b32 s82, s82, 0xffffff                               // 000000007DDC: 8652FF52 00FFFFFF
	s_mul_i32 s82, s82, s71                                    // 000000007DE4: 92524752
	s_mul_i32 s61, s60, s61                                    // 000000007DE8: 923D3D3C
	s_add_u32 s82, s82, s61                                    // 000000007DEC: 80523D52
	v_mul_lo_u32 v7, v4, s82                                   // 000000007DF0: D2850007 0000A504
	v_add_u32_e32 v38, v6, v7                                  // 000000007DF8: 684C0F06
	v_readlane_b32 s82, v3, 2                                  // 000000007DFC: D2890052 00010503
	s_lshr_b32 s61, s82, 24                                    // 000000007E04: 8F3D9852
	s_and_b32 s82, s82, 0xffffff                               // 000000007E08: 8652FF52 00FFFFFF
	s_mul_i32 s82, s82, s71                                    // 000000007E10: 92524752
	s_mul_i32 s61, s60, s61                                    // 000000007E14: 923D3D3C
	s_add_u32 s82, s82, s61                                    // 000000007E18: 80523D52
	v_mul_lo_u32 v6, v5, s82                                   // 000000007E1C: D2850006 0000A505
	v_readlane_b32 s82, v3, 3                                  // 000000007E24: D2890052 00010703
	s_lshr_b32 s61, s82, 24                                    // 000000007E2C: 8F3D9852
	s_and_b32 s82, s82, 0xffffff                               // 000000007E30: 8652FF52 00FFFFFF
	s_mul_i32 s82, s82, s71                                    // 000000007E38: 92524752
	s_mul_i32 s61, s60, s61                                    // 000000007E3C: 923D3D3C
	s_add_u32 s82, s82, s61                                    // 000000007E40: 80523D52
	v_mul_lo_u32 v7, v4, s82                                   // 000000007E44: D2850007 0000A504
	v_add_u32_e32 v39, v6, v7                                  // 000000007E4C: 684E0F06
	v_readlane_b32 s82, v3, 4                                  // 000000007E50: D2890052 00010903
	s_lshr_b32 s61, s82, 24                                    // 000000007E58: 8F3D9852
	s_and_b32 s82, s82, 0xffffff                               // 000000007E5C: 8652FF52 00FFFFFF
	s_mul_i32 s82, s82, s71                                    // 000000007E64: 92524752
	s_mul_i32 s61, s60, s61                                    // 000000007E68: 923D3D3C
	s_add_u32 s82, s82, s61                                    // 000000007E6C: 80523D52
	v_mul_lo_u32 v6, v5, s82                                   // 000000007E70: D2850006 0000A505
	v_readlane_b32 s82, v3, 5                                  // 000000007E78: D2890052 00010B03
	s_lshr_b32 s61, s82, 24                                    // 000000007E80: 8F3D9852
	s_and_b32 s82, s82, 0xffffff                               // 000000007E84: 8652FF52 00FFFFFF
	s_mul_i32 s82, s82, s71                                    // 000000007E8C: 92524752
	s_mul_i32 s61, s60, s61                                    // 000000007E90: 923D3D3C
	s_add_u32 s82, s82, s61                                    // 000000007E94: 80523D52
	v_mul_lo_u32 v7, v4, s82                                   // 000000007E98: D2850007 0000A504
	v_add_u32_e32 v40, v6, v7                                  // 000000007EA0: 68500F06
	v_readlane_b32 s82, v3, 6                                  // 000000007EA4: D2890052 00010D03
	s_lshr_b32 s61, s82, 24                                    // 000000007EAC: 8F3D9852
	s_and_b32 s82, s82, 0xffffff                               // 000000007EB0: 8652FF52 00FFFFFF
	s_mul_i32 s82, s82, s71                                    // 000000007EB8: 92524752
	s_mul_i32 s61, s60, s61                                    // 000000007EBC: 923D3D3C
	s_add_u32 s82, s82, s61                                    // 000000007EC0: 80523D52
	v_mul_lo_u32 v6, v5, s82                                   // 000000007EC4: D2850006 0000A505
	v_readlane_b32 s82, v3, 7                                  // 000000007ECC: D2890052 00010F03
	s_lshr_b32 s61, s82, 24                                    // 000000007ED4: 8F3D9852
	s_and_b32 s82, s82, 0xffffff                               // 000000007ED8: 8652FF52 00FFFFFF
	s_mul_i32 s82, s82, s71                                    // 000000007EE0: 92524752
	s_mul_i32 s61, s60, s61                                    // 000000007EE4: 923D3D3C
	s_add_u32 s82, s82, s61                                    // 000000007EE8: 80523D52
	v_mul_lo_u32 v7, v4, s82                                   // 000000007EEC: D2850007 0000A504
	v_add_u32_e32 v41, v6, v7                                  // 000000007EF4: 68520F06
	v_and_b32_e32 v4, 31, v0                                   // 000000007EF8: 2608009F
	v_lshrrev_b32_e32 v4, 1, v4                                // 000000007EFC: 20080881
	s_cmp_eq_u32 s88, 0                                        // 000000007F00: BF068058
	s_cselect_b32 s61, 2, 4                                    // 000000007F04: 853D8482
	v_mul_lo_u32 v4, v4, s61                                   // 000000007F08: D2850004 00007B04
	v_and_b32_e64 v5, v0, 1                                    // 000000007F10: D1130005 00010300
	v_add_u32_e32 v4, v4, v5                                   // 000000007F18: 68080B04
	v_lshlrev_b32_e32 v4, 2, v4                                // 000000007F1C: 24080882
	v_add_u32_e32 v38, v38, v4                                 // 000000007F20: 684C0926
	v_add_u32_e32 v39, v39, v4                                 // 000000007F24: 684E0927
	v_add_u32_e32 v40, v40, v4                                 // 000000007F28: 68500928
	v_add_u32_e32 v41, v41, v4                                 // 000000007F2C: 68520929
	s_waitcnt lgkmcnt(0)                                       // 000000007F30: BF8CC07F
	s_barrier                                                  // 000000007F34: BF8A0000
	ds_read_b32 v48, v21                                       // 000000007F38: D86C0000 30000015
	ds_read_b32 v49, v21 offset:64                             // 000000007F40: D86C0040 31000015
	ds_read_b32 v52, v21 offset:2176                           // 000000007F48: D86C0880 34000015
	ds_read_b32 v53, v21 offset:2240                           // 000000007F50: D86C08C0 35000015
	ds_read_b32 v56, v21 offset:4352                           // 000000007F58: D86C1100 38000015
	ds_read_b32 v57, v21 offset:4416                           // 000000007F60: D86C1140 39000015
	ds_read_b32 v60, v21 offset:6528                           // 000000007F68: D86C1980 3C000015
	ds_read_b32 v61, v21 offset:6592                           // 000000007F70: D86C19C0 3D000015
	ds_read_b32 v64, v21 offset:8704                           // 000000007F78: D86C2200 40000015
	ds_read_b32 v65, v21 offset:8768                           // 000000007F80: D86C2240 41000015
	ds_read_b32 v68, v21 offset:10880                          // 000000007F88: D86C2A80 44000015
	ds_read_b32 v69, v21 offset:10944                          // 000000007F90: D86C2AC0 45000015
	s_waitcnt lgkmcnt(0)                                       // 000000007F98: BF8CC07F
	s_mov_b32 s36, -1                                          // 000000007F9C: BEA400C1
	s_mov_b32 s37, -1                                          // 000000007FA0: BEA500C1
	v_mov_b32_e32 v7, 0                                        // 000000007FA4: 7E0E0280
	s_mov_b64 exec, s[36:37]                                   // 000000007FA8: BEFE0124
	v_mov_b32_e32 v6, v38                                      // 000000007FAC: 7E0C0326
	s_mov_b64 s[60:61], 0                                      // 000000007FB0: BEBC0180
	v_readlane_b32 s82, v3, 0                                  // 000000007FB4: D2890052 00010103
	s_and_b32 s82, s82, 0xffffff                               // 000000007FBC: 8652FF52 00FFFFFF
	s_cmp_lt_u32 s82, s66                                      // 000000007FC4: BF0A4252
	s_cselect_b32 s20, s36, s60                                // 000000007FC8: 85143C24
	v_readlane_b32 s82, v3, 1                                  // 000000007FCC: D2890052 00010303
	s_and_b32 s82, s82, 0xffffff                               // 000000007FD4: 8652FF52 00FFFFFF
	s_cmp_lt_u32 s82, s66                                      // 000000007FDC: BF0A4252
	s_cselect_b32 s21, s36, s60                                // 000000007FE0: 85153C24
	s_mov_b64 exec, s[20:21]                                   // 000000007FE4: BEFE0114
	global_atomic_add_f32 v6, v48, s[8:9]                      // 000000007FE8: DD348000 00083006
	global_atomic_add_f32 v6, v52, s[8:9] offset:256           // 000000007FF0: DD348100 00083406
	global_atomic_add_f32 v6, v56, s[8:9] offset:512           // 000000007FF8: DD348200 00083806
	s_mov_b64 exec, s[36:37]                                   // 000000008000: BEFE0124
	v_mov_b32_e32 v6, v39                                      // 000000008004: 7E0C0327
	s_mov_b64 s[60:61], 0                                      // 000000008008: BEBC0180
	v_readlane_b32 s82, v3, 2                                  // 00000000800C: D2890052 00010503
	s_and_b32 s82, s82, 0xffffff                               // 000000008014: 8652FF52 00FFFFFF
	s_cmp_lt_u32 s82, s66                                      // 00000000801C: BF0A4252
	s_cselect_b32 s20, s36, s60                                // 000000008020: 85143C24
	v_readlane_b32 s82, v3, 3                                  // 000000008024: D2890052 00010703
	s_and_b32 s82, s82, 0xffffff                               // 00000000802C: 8652FF52 00FFFFFF
	s_cmp_lt_u32 s82, s66                                      // 000000008034: BF0A4252
	s_cselect_b32 s21, s36, s60                                // 000000008038: 85153C24
	s_mov_b64 exec, s[20:21]                                   // 00000000803C: BEFE0114
	global_atomic_add_f32 v6, v49, s[8:9]                      // 000000008040: DD348000 00083106
	global_atomic_add_f32 v6, v53, s[8:9] offset:256           // 000000008048: DD348100 00083506
	global_atomic_add_f32 v6, v57, s[8:9] offset:512           // 000000008050: DD348200 00083906
	s_mov_b64 exec, s[36:37]                                   // 000000008058: BEFE0124
	v_mov_b32_e32 v6, v40                                      // 00000000805C: 7E0C0328
	s_mov_b64 s[60:61], 0                                      // 000000008060: BEBC0180
	v_readlane_b32 s82, v3, 4                                  // 000000008064: D2890052 00010903
	s_and_b32 s82, s82, 0xffffff                               // 00000000806C: 8652FF52 00FFFFFF
	s_cmp_lt_u32 s82, s66                                      // 000000008074: BF0A4252
	s_cselect_b32 s20, s36, s60                                // 000000008078: 85143C24
	v_readlane_b32 s82, v3, 5                                  // 00000000807C: D2890052 00010B03
	s_and_b32 s82, s82, 0xffffff                               // 000000008084: 8652FF52 00FFFFFF
	s_cmp_lt_u32 s82, s66                                      // 00000000808C: BF0A4252
	s_cselect_b32 s21, s36, s60                                // 000000008090: 85153C24
	s_mov_b64 exec, s[20:21]                                   // 000000008094: BEFE0114
	global_atomic_add_f32 v6, v60, s[8:9]                      // 000000008098: DD348000 00083C06
	global_atomic_add_f32 v6, v64, s[8:9] offset:256           // 0000000080A0: DD348100 00084006
	global_atomic_add_f32 v6, v68, s[8:9] offset:512           // 0000000080A8: DD348200 00084406
	s_mov_b64 exec, s[36:37]                                   // 0000000080B0: BEFE0124
	v_mov_b32_e32 v6, v41                                      // 0000000080B4: 7E0C0329
	s_mov_b64 s[60:61], 0                                      // 0000000080B8: BEBC0180
	v_readlane_b32 s82, v3, 6                                  // 0000000080BC: D2890052 00010D03
	s_and_b32 s82, s82, 0xffffff                               // 0000000080C4: 8652FF52 00FFFFFF
	s_cmp_lt_u32 s82, s66                                      // 0000000080CC: BF0A4252
	s_cselect_b32 s20, s36, s60                                // 0000000080D0: 85143C24
	v_readlane_b32 s82, v3, 7                                  // 0000000080D4: D2890052 00010F03
	s_and_b32 s82, s82, 0xffffff                               // 0000000080DC: 8652FF52 00FFFFFF
	s_cmp_lt_u32 s82, s66                                      // 0000000080E4: BF0A4252
	s_cselect_b32 s21, s36, s60                                // 0000000080E8: 85153C24
	s_mov_b64 exec, s[20:21]                                   // 0000000080EC: BEFE0114
	global_atomic_add_f32 v6, v61, s[8:9]                      // 0000000080F0: DD348000 00083D06
	global_atomic_add_f32 v6, v65, s[8:9] offset:256           // 0000000080F8: DD348100 00084106
	global_atomic_add_f32 v6, v69, s[8:9] offset:512           // 000000008100: DD348200 00084506
	s_mov_b64 exec, s[36:37]                                   // 000000008108: BEFE0124
	ds_write_b64 v20, v[50:51]                                 // 00000000810C: D89A0000 00003214
	ds_write_b64 v20, v[54:55] offset:6528                     // 000000008114: D89A1980 00003614
	ds_write_b64 v20, v[58:59] offset:2176                     // 00000000811C: D89A0880 00003A14
	ds_write_b64 v20, v[62:63] offset:8704                     // 000000008124: D89A2200 00003E14
	ds_write_b64 v20, v[66:67] offset:4352                     // 00000000812C: D89A1100 00004214
	ds_write_b64 v20, v[70:71] offset:10880                    // 000000008134: D89A2A80 00004614
	s_waitcnt lgkmcnt(0)                                       // 00000000813C: BF8CC07F
	s_barrier                                                  // 000000008140: BF8A0000
	ds_read_b32 v50, v21                                       // 000000008144: D86C0000 32000015
	ds_read_b32 v51, v21 offset:64                             // 00000000814C: D86C0040 33000015
	ds_read_b32 v54, v21 offset:2176                           // 000000008154: D86C0880 36000015
	ds_read_b32 v55, v21 offset:2240                           // 00000000815C: D86C08C0 37000015
	ds_read_b32 v58, v21 offset:4352                           // 000000008164: D86C1100 3A000015
	ds_read_b32 v59, v21 offset:4416                           // 00000000816C: D86C1140 3B000015
	ds_read_b32 v62, v21 offset:6528                           // 000000008174: D86C1980 3E000015
	ds_read_b32 v63, v21 offset:6592                           // 00000000817C: D86C19C0 3F000015
	ds_read_b32 v66, v21 offset:8704                           // 000000008184: D86C2200 42000015
	ds_read_b32 v67, v21 offset:8768                           // 00000000818C: D86C2240 43000015
	ds_read_b32 v70, v21 offset:10880                          // 000000008194: D86C2A80 46000015
	ds_read_b32 v71, v21 offset:10944                          // 00000000819C: D86C2AC0 47000015
	s_waitcnt lgkmcnt(0)                                       // 0000000081A4: BF8CC07F
	v_mov_b32_e32 v7, 0                                        // 0000000081A8: 7E0E0280
	s_mov_b64 exec, s[36:37]                                   // 0000000081AC: BEFE0124
	v_mov_b32_e32 v6, v38                                      // 0000000081B0: 7E0C0326
	s_mov_b64 s[60:61], 0                                      // 0000000081B4: BEBC0180
	v_readlane_b32 s82, v3, 0                                  // 0000000081B8: D2890052 00010103
	s_and_b32 s82, s82, 0xffffff                               // 0000000081C0: 8652FF52 00FFFFFF
	s_cmp_lt_u32 s82, s66                                      // 0000000081C8: BF0A4252
	s_cselect_b32 s20, s36, s60                                // 0000000081CC: 85143C24
	v_readlane_b32 s82, v3, 1                                  // 0000000081D0: D2890052 00010303
	s_and_b32 s82, s82, 0xffffff                               // 0000000081D8: 8652FF52 00FFFFFF
	s_cmp_lt_u32 s82, s66                                      // 0000000081E0: BF0A4252
	s_cselect_b32 s21, s36, s60                                // 0000000081E4: 85153C24
	s_mov_b64 exec, s[20:21]                                   // 0000000081E8: BEFE0114
	global_atomic_add_f32 v6, v50, s[8:9] offset:8             // 0000000081EC: DD348008 00083206
	global_atomic_add_f32 v6, v54, s[8:9] offset:264           // 0000000081F4: DD348108 00083606
	global_atomic_add_f32 v6, v58, s[8:9] offset:520           // 0000000081FC: DD348208 00083A06
	s_mov_b64 exec, s[36:37]                                   // 000000008204: BEFE0124
	v_mov_b32_e32 v6, v39                                      // 000000008208: 7E0C0327
	s_mov_b64 s[60:61], 0                                      // 00000000820C: BEBC0180
	v_readlane_b32 s82, v3, 2                                  // 000000008210: D2890052 00010503
	s_and_b32 s82, s82, 0xffffff                               // 000000008218: 8652FF52 00FFFFFF
	s_cmp_lt_u32 s82, s66                                      // 000000008220: BF0A4252
	s_cselect_b32 s20, s36, s60                                // 000000008224: 85143C24
	v_readlane_b32 s82, v3, 3                                  // 000000008228: D2890052 00010703
	s_and_b32 s82, s82, 0xffffff                               // 000000008230: 8652FF52 00FFFFFF
	s_cmp_lt_u32 s82, s66                                      // 000000008238: BF0A4252
	s_cselect_b32 s21, s36, s60                                // 00000000823C: 85153C24
	s_mov_b64 exec, s[20:21]                                   // 000000008240: BEFE0114
	global_atomic_add_f32 v6, v51, s[8:9] offset:8             // 000000008244: DD348008 00083306
	global_atomic_add_f32 v6, v55, s[8:9] offset:264           // 00000000824C: DD348108 00083706
	global_atomic_add_f32 v6, v59, s[8:9] offset:520           // 000000008254: DD348208 00083B06
	s_mov_b64 exec, s[36:37]                                   // 00000000825C: BEFE0124
	v_mov_b32_e32 v6, v40                                      // 000000008260: 7E0C0328
	s_mov_b64 s[60:61], 0                                      // 000000008264: BEBC0180
	v_readlane_b32 s82, v3, 4                                  // 000000008268: D2890052 00010903
	s_and_b32 s82, s82, 0xffffff                               // 000000008270: 8652FF52 00FFFFFF
	s_cmp_lt_u32 s82, s66                                      // 000000008278: BF0A4252
	s_cselect_b32 s20, s36, s60                                // 00000000827C: 85143C24
	v_readlane_b32 s82, v3, 5                                  // 000000008280: D2890052 00010B03
	s_and_b32 s82, s82, 0xffffff                               // 000000008288: 8652FF52 00FFFFFF
	s_cmp_lt_u32 s82, s66                                      // 000000008290: BF0A4252
	s_cselect_b32 s21, s36, s60                                // 000000008294: 85153C24
	s_mov_b64 exec, s[20:21]                                   // 000000008298: BEFE0114
	global_atomic_add_f32 v6, v62, s[8:9] offset:8             // 00000000829C: DD348008 00083E06
	global_atomic_add_f32 v6, v66, s[8:9] offset:264           // 0000000082A4: DD348108 00084206
	global_atomic_add_f32 v6, v70, s[8:9] offset:520           // 0000000082AC: DD348208 00084606
	s_mov_b64 exec, s[36:37]                                   // 0000000082B4: BEFE0124
	v_mov_b32_e32 v6, v41                                      // 0000000082B8: 7E0C0329
	s_mov_b64 s[60:61], 0                                      // 0000000082BC: BEBC0180
	v_readlane_b32 s82, v3, 6                                  // 0000000082C0: D2890052 00010D03
	s_and_b32 s82, s82, 0xffffff                               // 0000000082C8: 8652FF52 00FFFFFF
	s_cmp_lt_u32 s82, s66                                      // 0000000082D0: BF0A4252
	s_cselect_b32 s20, s36, s60                                // 0000000082D4: 85143C24
	v_readlane_b32 s82, v3, 7                                  // 0000000082D8: D2890052 00010F03
	s_and_b32 s82, s82, 0xffffff                               // 0000000082E0: 8652FF52 00FFFFFF
	s_cmp_lt_u32 s82, s66                                      // 0000000082E8: BF0A4252
	s_cselect_b32 s21, s36, s60                                // 0000000082EC: 85153C24
	s_mov_b64 exec, s[20:21]                                   // 0000000082F0: BEFE0114
	global_atomic_add_f32 v6, v63, s[8:9] offset:8             // 0000000082F4: DD348008 00083F06
	global_atomic_add_f32 v6, v67, s[8:9] offset:264           // 0000000082FC: DD348108 00084306
	global_atomic_add_f32 v6, v71, s[8:9] offset:520           // 000000008304: DD348208 00084706
	s_mov_b64 exec, s[36:37]                                   // 00000000830C: BEFE0124
	ds_write_b64 v20, v[72:73]                                 // 000000008310: D89A0000 00004814
	ds_write_b64 v20, v[76:77] offset:6528                     // 000000008318: D89A1980 00004C14
	ds_write_b64 v20, v[80:81] offset:2176                     // 000000008320: D89A0880 00005014
	ds_write_b64 v20, v[84:85] offset:8704                     // 000000008328: D89A2200 00005414
	ds_write_b64 v20, v[88:89] offset:4352                     // 000000008330: D89A1100 00005814
	ds_write_b64 v20, v[92:93] offset:10880                    // 000000008338: D89A2A80 00005C14
	s_waitcnt lgkmcnt(0)                                       // 000000008340: BF8CC07F
	s_barrier                                                  // 000000008344: BF8A0000
	ds_read_b32 v72, v21                                       // 000000008348: D86C0000 48000015
	ds_read_b32 v73, v21 offset:64                             // 000000008350: D86C0040 49000015
	ds_read_b32 v76, v21 offset:2176                           // 000000008358: D86C0880 4C000015
	ds_read_b32 v77, v21 offset:2240                           // 000000008360: D86C08C0 4D000015
	ds_read_b32 v80, v21 offset:4352                           // 000000008368: D86C1100 50000015
	ds_read_b32 v81, v21 offset:4416                           // 000000008370: D86C1140 51000015
	ds_read_b32 v84, v21 offset:6528                           // 000000008378: D86C1980 54000015
	ds_read_b32 v85, v21 offset:6592                           // 000000008380: D86C19C0 55000015
	ds_read_b32 v88, v21 offset:8704                           // 000000008388: D86C2200 58000015
	ds_read_b32 v89, v21 offset:8768                           // 000000008390: D86C2240 59000015
	ds_read_b32 v92, v21 offset:10880                          // 000000008398: D86C2A80 5C000015
	ds_read_b32 v93, v21 offset:10944                          // 0000000083A0: D86C2AC0 5D000015
	s_mul_i32 s60, s65, 4                                      // 0000000083A8: 923C8441
	s_add_u32 s8, s60, s8                                      // 0000000083AC: 8008083C
	s_addc_u32 s9, 0, s9                                       // 0000000083B0: 82090980
	s_waitcnt lgkmcnt(0)                                       // 0000000083B4: BF8CC07F
	v_mov_b32_e32 v7, 0                                        // 0000000083B8: 7E0E0280
	s_mov_b64 exec, s[36:37]                                   // 0000000083BC: BEFE0124
	v_mov_b32_e32 v6, v38                                      // 0000000083C0: 7E0C0326
	s_mov_b64 s[60:61], 0                                      // 0000000083C4: BEBC0180
	v_readlane_b32 s82, v3, 0                                  // 0000000083C8: D2890052 00010103
	s_and_b32 s82, s82, 0xffffff                               // 0000000083D0: 8652FF52 00FFFFFF
	s_cmp_lt_u32 s82, s66                                      // 0000000083D8: BF0A4252
	s_cselect_b32 s20, s36, s60                                // 0000000083DC: 85143C24
	v_readlane_b32 s82, v3, 1                                  // 0000000083E0: D2890052 00010303
	s_and_b32 s82, s82, 0xffffff                               // 0000000083E8: 8652FF52 00FFFFFF
	s_cmp_lt_u32 s82, s66                                      // 0000000083F0: BF0A4252
	s_cselect_b32 s21, s36, s60                                // 0000000083F4: 85153C24
	s_mov_b64 exec, s[20:21]                                   // 0000000083F8: BEFE0114
	global_atomic_add_f32 v6, v72, s[8:9]                      // 0000000083FC: DD348000 00084806
	global_atomic_add_f32 v6, v76, s[8:9] offset:256           // 000000008404: DD348100 00084C06
	global_atomic_add_f32 v6, v80, s[8:9] offset:512           // 00000000840C: DD348200 00085006
	s_mov_b64 exec, s[36:37]                                   // 000000008414: BEFE0124
	v_mov_b32_e32 v6, v39                                      // 000000008418: 7E0C0327
	s_mov_b64 s[60:61], 0                                      // 00000000841C: BEBC0180
	v_readlane_b32 s82, v3, 2                                  // 000000008420: D2890052 00010503
	s_and_b32 s82, s82, 0xffffff                               // 000000008428: 8652FF52 00FFFFFF
	s_cmp_lt_u32 s82, s66                                      // 000000008430: BF0A4252
	s_cselect_b32 s20, s36, s60                                // 000000008434: 85143C24
	v_readlane_b32 s82, v3, 3                                  // 000000008438: D2890052 00010703
	s_and_b32 s82, s82, 0xffffff                               // 000000008440: 8652FF52 00FFFFFF
	s_cmp_lt_u32 s82, s66                                      // 000000008448: BF0A4252
	s_cselect_b32 s21, s36, s60                                // 00000000844C: 85153C24
	s_mov_b64 exec, s[20:21]                                   // 000000008450: BEFE0114
	global_atomic_add_f32 v6, v73, s[8:9]                      // 000000008454: DD348000 00084906
	global_atomic_add_f32 v6, v77, s[8:9] offset:256           // 00000000845C: DD348100 00084D06
	global_atomic_add_f32 v6, v81, s[8:9] offset:512           // 000000008464: DD348200 00085106
	s_mov_b64 exec, s[36:37]                                   // 00000000846C: BEFE0124
	v_mov_b32_e32 v6, v40                                      // 000000008470: 7E0C0328
	s_mov_b64 s[60:61], 0                                      // 000000008474: BEBC0180
	v_readlane_b32 s82, v3, 4                                  // 000000008478: D2890052 00010903
	s_and_b32 s82, s82, 0xffffff                               // 000000008480: 8652FF52 00FFFFFF
	s_cmp_lt_u32 s82, s66                                      // 000000008488: BF0A4252
	s_cselect_b32 s20, s36, s60                                // 00000000848C: 85143C24
	v_readlane_b32 s82, v3, 5                                  // 000000008490: D2890052 00010B03
	s_and_b32 s82, s82, 0xffffff                               // 000000008498: 8652FF52 00FFFFFF
	s_cmp_lt_u32 s82, s66                                      // 0000000084A0: BF0A4252
	s_cselect_b32 s21, s36, s60                                // 0000000084A4: 85153C24
	s_mov_b64 exec, s[20:21]                                   // 0000000084A8: BEFE0114
	global_atomic_add_f32 v6, v84, s[8:9]                      // 0000000084AC: DD348000 00085406
	global_atomic_add_f32 v6, v88, s[8:9] offset:256           // 0000000084B4: DD348100 00085806
	global_atomic_add_f32 v6, v92, s[8:9] offset:512           // 0000000084BC: DD348200 00085C06
	s_mov_b64 exec, s[36:37]                                   // 0000000084C4: BEFE0124
	v_mov_b32_e32 v6, v41                                      // 0000000084C8: 7E0C0329
	s_mov_b64 s[60:61], 0                                      // 0000000084CC: BEBC0180
	v_readlane_b32 s82, v3, 6                                  // 0000000084D0: D2890052 00010D03
	s_and_b32 s82, s82, 0xffffff                               // 0000000084D8: 8652FF52 00FFFFFF
	s_cmp_lt_u32 s82, s66                                      // 0000000084E0: BF0A4252
	s_cselect_b32 s20, s36, s60                                // 0000000084E4: 85143C24
	v_readlane_b32 s82, v3, 7                                  // 0000000084E8: D2890052 00010F03
	s_and_b32 s82, s82, 0xffffff                               // 0000000084F0: 8652FF52 00FFFFFF
	s_cmp_lt_u32 s82, s66                                      // 0000000084F8: BF0A4252
	s_cselect_b32 s21, s36, s60                                // 0000000084FC: 85153C24
	s_mov_b64 exec, s[20:21]                                   // 000000008500: BEFE0114
	global_atomic_add_f32 v6, v85, s[8:9]                      // 000000008504: DD348000 00085506
	global_atomic_add_f32 v6, v89, s[8:9] offset:256           // 00000000850C: DD348100 00085906
	global_atomic_add_f32 v6, v93, s[8:9] offset:512           // 000000008514: DD348200 00085D06
	s_mov_b64 exec, s[36:37]                                   // 00000000851C: BEFE0124
	ds_write_b64 v20, v[74:75]                                 // 000000008520: D89A0000 00004A14
	ds_write_b64 v20, v[78:79] offset:6528                     // 000000008528: D89A1980 00004E14
	ds_write_b64 v20, v[82:83] offset:2176                     // 000000008530: D89A0880 00005214
	ds_write_b64 v20, v[86:87] offset:8704                     // 000000008538: D89A2200 00005614
	ds_write_b64 v20, v[90:91] offset:4352                     // 000000008540: D89A1100 00005A14
	ds_write_b64 v20, v[94:95] offset:10880                    // 000000008548: D89A2A80 00005E14
	s_waitcnt lgkmcnt(0)                                       // 000000008550: BF8CC07F
	s_barrier                                                  // 000000008554: BF8A0000
	ds_read_b32 v74, v21                                       // 000000008558: D86C0000 4A000015
	ds_read_b32 v75, v21 offset:64                             // 000000008560: D86C0040 4B000015
	ds_read_b32 v78, v21 offset:2176                           // 000000008568: D86C0880 4E000015
	ds_read_b32 v79, v21 offset:2240                           // 000000008570: D86C08C0 4F000015
	ds_read_b32 v82, v21 offset:4352                           // 000000008578: D86C1100 52000015
	ds_read_b32 v83, v21 offset:4416                           // 000000008580: D86C1140 53000015
	ds_read_b32 v86, v21 offset:6528                           // 000000008588: D86C1980 56000015
	ds_read_b32 v87, v21 offset:6592                           // 000000008590: D86C19C0 57000015
	ds_read_b32 v90, v21 offset:8704                           // 000000008598: D86C2200 5A000015
	ds_read_b32 v91, v21 offset:8768                           // 0000000085A0: D86C2240 5B000015
	ds_read_b32 v94, v21 offset:10880                          // 0000000085A8: D86C2A80 5E000015
	ds_read_b32 v95, v21 offset:10944                          // 0000000085B0: D86C2AC0 5F000015
	s_waitcnt lgkmcnt(0)                                       // 0000000085B8: BF8CC07F
	v_mov_b32_e32 v7, 0                                        // 0000000085BC: 7E0E0280
	s_mov_b64 exec, s[36:37]                                   // 0000000085C0: BEFE0124
	v_mov_b32_e32 v6, v38                                      // 0000000085C4: 7E0C0326
	s_mov_b64 s[60:61], 0                                      // 0000000085C8: BEBC0180
	v_readlane_b32 s82, v3, 0                                  // 0000000085CC: D2890052 00010103
	s_and_b32 s82, s82, 0xffffff                               // 0000000085D4: 8652FF52 00FFFFFF
	s_cmp_lt_u32 s82, s66                                      // 0000000085DC: BF0A4252
	s_cselect_b32 s20, s36, s60                                // 0000000085E0: 85143C24
	v_readlane_b32 s82, v3, 1                                  // 0000000085E4: D2890052 00010303
	s_and_b32 s82, s82, 0xffffff                               // 0000000085EC: 8652FF52 00FFFFFF
	s_cmp_lt_u32 s82, s66                                      // 0000000085F4: BF0A4252
	s_cselect_b32 s21, s36, s60                                // 0000000085F8: 85153C24
	s_mov_b64 exec, s[20:21]                                   // 0000000085FC: BEFE0114
	global_atomic_add_f32 v6, v74, s[8:9] offset:8             // 000000008600: DD348008 00084A06
	global_atomic_add_f32 v6, v78, s[8:9] offset:264           // 000000008608: DD348108 00084E06
	global_atomic_add_f32 v6, v82, s[8:9] offset:520           // 000000008610: DD348208 00085206
	s_mov_b64 exec, s[36:37]                                   // 000000008618: BEFE0124
	v_mov_b32_e32 v6, v39                                      // 00000000861C: 7E0C0327
	s_mov_b64 s[60:61], 0                                      // 000000008620: BEBC0180
	v_readlane_b32 s82, v3, 2                                  // 000000008624: D2890052 00010503
	s_and_b32 s82, s82, 0xffffff                               // 00000000862C: 8652FF52 00FFFFFF
	s_cmp_lt_u32 s82, s66                                      // 000000008634: BF0A4252
	s_cselect_b32 s20, s36, s60                                // 000000008638: 85143C24
	v_readlane_b32 s82, v3, 3                                  // 00000000863C: D2890052 00010703
	s_and_b32 s82, s82, 0xffffff                               // 000000008644: 8652FF52 00FFFFFF
	s_cmp_lt_u32 s82, s66                                      // 00000000864C: BF0A4252
	s_cselect_b32 s21, s36, s60                                // 000000008650: 85153C24
	s_mov_b64 exec, s[20:21]                                   // 000000008654: BEFE0114
	global_atomic_add_f32 v6, v75, s[8:9] offset:8             // 000000008658: DD348008 00084B06
	global_atomic_add_f32 v6, v79, s[8:9] offset:264           // 000000008660: DD348108 00084F06
	global_atomic_add_f32 v6, v83, s[8:9] offset:520           // 000000008668: DD348208 00085306
	s_mov_b64 exec, s[36:37]                                   // 000000008670: BEFE0124
	v_mov_b32_e32 v6, v40                                      // 000000008674: 7E0C0328
	s_mov_b64 s[60:61], 0                                      // 000000008678: BEBC0180
	v_readlane_b32 s82, v3, 4                                  // 00000000867C: D2890052 00010903
	s_and_b32 s82, s82, 0xffffff                               // 000000008684: 8652FF52 00FFFFFF
	s_cmp_lt_u32 s82, s66                                      // 00000000868C: BF0A4252
	s_cselect_b32 s20, s36, s60                                // 000000008690: 85143C24
	v_readlane_b32 s82, v3, 5                                  // 000000008694: D2890052 00010B03
	s_and_b32 s82, s82, 0xffffff                               // 00000000869C: 8652FF52 00FFFFFF
	s_cmp_lt_u32 s82, s66                                      // 0000000086A4: BF0A4252
	s_cselect_b32 s21, s36, s60                                // 0000000086A8: 85153C24
	s_mov_b64 exec, s[20:21]                                   // 0000000086AC: BEFE0114
	global_atomic_add_f32 v6, v86, s[8:9] offset:8             // 0000000086B0: DD348008 00085606
	global_atomic_add_f32 v6, v90, s[8:9] offset:264           // 0000000086B8: DD348108 00085A06
	global_atomic_add_f32 v6, v94, s[8:9] offset:520           // 0000000086C0: DD348208 00085E06
	s_mov_b64 exec, s[36:37]                                   // 0000000086C8: BEFE0124
	v_mov_b32_e32 v6, v41                                      // 0000000086CC: 7E0C0329
	s_mov_b64 s[60:61], 0                                      // 0000000086D0: BEBC0180
	v_readlane_b32 s82, v3, 6                                  // 0000000086D4: D2890052 00010D03
	s_and_b32 s82, s82, 0xffffff                               // 0000000086DC: 8652FF52 00FFFFFF
	s_cmp_lt_u32 s82, s66                                      // 0000000086E4: BF0A4252
	s_cselect_b32 s20, s36, s60                                // 0000000086E8: 85143C24
	v_readlane_b32 s82, v3, 7                                  // 0000000086EC: D2890052 00010F03
	s_and_b32 s82, s82, 0xffffff                               // 0000000086F4: 8652FF52 00FFFFFF
	s_cmp_lt_u32 s82, s66                                      // 0000000086FC: BF0A4252
	s_cselect_b32 s21, s36, s60                                // 000000008700: 85153C24
	s_mov_b64 exec, s[20:21]                                   // 000000008704: BEFE0114
	global_atomic_add_f32 v6, v87, s[8:9] offset:8             // 000000008708: DD348008 00085706
	global_atomic_add_f32 v6, v91, s[8:9] offset:264           // 000000008710: DD348108 00085B06
	global_atomic_add_f32 v6, v95, s[8:9] offset:520           // 000000008718: DD348208 00085F06
	s_mov_b64 exec, s[36:37]                                   // 000000008720: BEFE0124
	s_branch label_16CD                                        // 000000008724: BF820000

0000000000008728 <label_16CD>:
	s_waitcnt vmcnt(0) expcnt(0) lgkmcnt(0)                    // 000000008728: BF8C0000
	s_endpgm                                                   // 00000000872C: BF810000
